;; amdgpu-corpus repo=ROCm/rocFFT kind=compiled arch=gfx906 opt=O3
	.text
	.amdgcn_target "amdgcn-amd-amdhsa--gfx906"
	.amdhsa_code_object_version 6
	.protected	bluestein_single_back_len1105_dim1_half_op_CI_CI ; -- Begin function bluestein_single_back_len1105_dim1_half_op_CI_CI
	.globl	bluestein_single_back_len1105_dim1_half_op_CI_CI
	.p2align	8
	.type	bluestein_single_back_len1105_dim1_half_op_CI_CI,@function
bluestein_single_back_len1105_dim1_half_op_CI_CI: ; @bluestein_single_back_len1105_dim1_half_op_CI_CI
; %bb.0:
	v_mul_u32_u24_e32 v1, 0x304, v0
	s_load_dwordx4 s[0:3], s[4:5], 0x28
	v_lshrrev_b32_e32 v1, 16, v1
	v_mad_u64_u32 v[24:25], s[6:7], s6, 3, v[1:2]
	v_mov_b32_e32 v25, 0
	s_waitcnt lgkmcnt(0)
	v_cmp_gt_u64_e32 vcc, s[0:1], v[24:25]
	s_and_saveexec_b64 s[0:1], vcc
	s_cbranch_execz .LBB0_23
; %bb.1:
	s_mov_b32 s0, 0xaaaaaaab
	v_mul_hi_u32 v2, v24, s0
	v_mul_lo_u16_e32 v1, 0x55, v1
	s_load_dwordx2 s[6:7], s[4:5], 0x0
	s_load_dwordx2 s[12:13], s[4:5], 0x38
	v_sub_u16_e32 v44, v0, v1
	v_lshrrev_b32_e32 v0, 1, v2
	v_lshl_add_u32 v0, v0, 1, v0
	v_sub_u32_e32 v0, v24, v0
	v_mul_u32_u24_e32 v45, 0x451, v0
	s_movk_i32 s0, 0x41
	v_cmp_gt_u16_e64 s[0:1], s0, v44
	v_lshlrev_b32_e32 v43, 2, v44
	v_lshlrev_b32_e32 v46, 2, v45
	s_and_saveexec_b64 s[8:9], s[0:1]
	s_cbranch_execz .LBB0_3
; %bb.2:
	s_load_dwordx2 s[10:11], s[4:5], 0x18
	v_lshl_add_u32 v14, v44, 2, v46
	v_add_u32_e32 v15, v46, v43
	s_waitcnt lgkmcnt(0)
	s_load_dwordx4 s[16:19], s[10:11], 0x0
	s_waitcnt lgkmcnt(0)
	v_mad_u64_u32 v[0:1], s[10:11], s18, v24, 0
	v_mad_u64_u32 v[2:3], s[10:11], s16, v44, 0
	;; [unrolled: 1-line block ×4, first 2 shown]
	v_mov_b32_e32 v1, v4
	v_lshlrev_b64 v[0:1], 2, v[0:1]
	v_mov_b32_e32 v3, v5
	v_mov_b32_e32 v6, s3
	v_lshlrev_b64 v[2:3], 2, v[2:3]
	v_add_co_u32_e32 v0, vcc, s2, v0
	v_addc_co_u32_e32 v1, vcc, v6, v1, vcc
	v_add_co_u32_e32 v0, vcc, v0, v2
	s_mul_i32 s2, s17, 0x104
	s_mul_hi_u32 s3, s16, 0x104
	v_addc_co_u32_e32 v1, vcc, v1, v3, vcc
	s_add_i32 s2, s3, s2
	s_mul_i32 s3, s16, 0x104
	v_mov_b32_e32 v3, s2
	v_add_co_u32_e32 v2, vcc, s3, v0
	v_addc_co_u32_e32 v3, vcc, v1, v3, vcc
	global_load_dword v4, v[0:1], off
	global_load_dword v5, v[2:3], off
	global_load_dword v6, v43, s[6:7]
	global_load_dword v7, v43, s[6:7] offset:260
	v_mov_b32_e32 v1, s2
	v_add_co_u32_e32 v0, vcc, s3, v2
	v_addc_co_u32_e32 v1, vcc, v3, v1, vcc
	global_load_dword v8, v[0:1], off
	global_load_dword v9, v43, s[6:7] offset:520
	v_mov_b32_e32 v2, s2
	v_add_co_u32_e32 v0, vcc, s3, v0
	v_addc_co_u32_e32 v1, vcc, v1, v2, vcc
	global_load_dword v10, v[0:1], off
	global_load_dword v11, v43, s[6:7] offset:780
	v_add_co_u32_e32 v0, vcc, s3, v0
	v_addc_co_u32_e32 v1, vcc, v1, v2, vcc
	global_load_dword v12, v[0:1], off
	global_load_dword v13, v43, s[6:7] offset:1040
	v_mov_b32_e32 v2, s7
	v_add_co_u32_e32 v3, vcc, s6, v43
	v_addc_co_u32_e32 v18, vcc, 0, v2, vcc
	v_add_co_u32_e32 v2, vcc, 0x1000, v3
	v_addc_co_u32_e32 v3, vcc, 0, v18, vcc
	global_load_dword v16, v43, s[6:7] offset:1300
	global_load_dword v17, v43, s[6:7] offset:1560
	v_add_co_u32_e32 v0, vcc, s3, v0
	global_load_dword v2, v[2:3], off offset:64
	v_mov_b32_e32 v3, s2
	v_addc_co_u32_e32 v1, vcc, v1, v3, vcc
	global_load_dword v3, v[0:1], off
	v_mov_b32_e32 v18, s2
	v_add_co_u32_e32 v0, vcc, s3, v0
	v_addc_co_u32_e32 v1, vcc, v1, v18, vcc
	v_mov_b32_e32 v23, s2
	v_mov_b32_e32 v26, s2
	;; [unrolled: 1-line block ×4, first 2 shown]
	s_waitcnt vmcnt(13)
	v_lshrrev_b32_e32 v19, 16, v4
	s_waitcnt vmcnt(11)
	v_mul_f16_sdwa v20, v6, v4 dst_sel:DWORD dst_unused:UNUSED_PAD src0_sel:WORD_1 src1_sel:DWORD
	v_mul_f16_sdwa v21, v6, v19 dst_sel:DWORD dst_unused:UNUSED_PAD src0_sel:WORD_1 src1_sel:DWORD
	v_fma_f16 v19, v6, v19, -v20
	v_lshrrev_b32_e32 v20, 16, v5
	s_waitcnt vmcnt(10)
	v_mul_f16_sdwa v22, v7, v5 dst_sel:DWORD dst_unused:UNUSED_PAD src0_sel:WORD_1 src1_sel:DWORD
	v_fma_f16 v4, v6, v4, v21
	v_mul_f16_sdwa v6, v7, v20 dst_sel:DWORD dst_unused:UNUSED_PAD src0_sel:WORD_1 src1_sel:DWORD
	s_waitcnt vmcnt(9)
	v_lshrrev_b32_e32 v21, 16, v8
	v_fma_f16 v20, v7, v20, -v22
	s_waitcnt vmcnt(8)
	v_mul_f16_sdwa v22, v9, v8 dst_sel:DWORD dst_unused:UNUSED_PAD src0_sel:WORD_1 src1_sel:DWORD
	v_pack_b32_f16 v4, v4, v19
	v_fma_f16 v5, v7, v5, v6
	v_mul_f16_sdwa v6, v9, v21 dst_sel:DWORD dst_unused:UNUSED_PAD src0_sel:WORD_1 src1_sel:DWORD
	s_waitcnt vmcnt(7)
	v_lshrrev_b32_e32 v19, 16, v10
	v_fma_f16 v7, v9, v21, -v22
	s_waitcnt vmcnt(6)
	v_mul_f16_sdwa v21, v11, v10 dst_sel:DWORD dst_unused:UNUSED_PAD src0_sel:WORD_1 src1_sel:DWORD
	ds_write_b32 v14, v4
	v_pack_b32_f16 v4, v5, v20
	v_fma_f16 v5, v9, v8, v6
	v_mul_f16_sdwa v6, v11, v19 dst_sel:DWORD dst_unused:UNUSED_PAD src0_sel:WORD_1 src1_sel:DWORD
	v_fma_f16 v8, v11, v19, -v21
	v_pack_b32_f16 v5, v5, v7
	v_fma_f16 v6, v11, v10, v6
	ds_write2_b32 v15, v4, v5 offset0:65 offset1:130
	v_pack_b32_f16 v4, v6, v8
	global_load_dword v6, v[0:1], off
	s_waitcnt vmcnt(6)
	v_lshrrev_b32_e32 v9, 16, v12
	v_mov_b32_e32 v8, s2
	v_add_co_u32_e32 v0, vcc, s3, v0
	s_waitcnt vmcnt(5)
	v_mul_f16_sdwa v14, v13, v12 dst_sel:DWORD dst_unused:UNUSED_PAD src0_sel:WORD_1 src1_sel:DWORD
	v_mul_f16_sdwa v7, v13, v9 dst_sel:DWORD dst_unused:UNUSED_PAD src0_sel:WORD_1 src1_sel:DWORD
	v_addc_co_u32_e32 v1, vcc, v1, v8, vcc
	v_fma_f16 v5, v13, v12, v7
	v_fma_f16 v7, v13, v9, -v14
	global_load_dword v8, v[0:1], off
	global_load_dword v9, v43, s[6:7] offset:1820
	v_mov_b32_e32 v10, s2
	v_add_co_u32_e32 v0, vcc, s3, v0
	v_addc_co_u32_e32 v1, vcc, v1, v10, vcc
	global_load_dword v10, v[0:1], off
	global_load_dword v11, v43, s[6:7] offset:2080
	v_mov_b32_e32 v12, s2
	v_add_co_u32_e32 v0, vcc, s3, v0
	v_addc_co_u32_e32 v1, vcc, v1, v12, vcc
	;; [unrolled: 5-line block ×5, first 2 shown]
	global_load_dword v21, v[0:1], off
	global_load_dword v22, v43, s[6:7] offset:3120
	v_add_co_u32_e32 v0, vcc, s3, v0
	v_addc_co_u32_e32 v1, vcc, v1, v23, vcc
	global_load_dword v23, v[0:1], off
	global_load_dword v25, v43, s[6:7] offset:3380
	v_add_co_u32_e32 v0, vcc, s3, v0
	v_addc_co_u32_e32 v1, vcc, v1, v26, vcc
	;; [unrolled: 4-line block ×4, first 2 shown]
	global_load_dword v0, v[0:1], off
	v_pack_b32_f16 v1, v5, v7
	v_add_u32_e32 v5, 0x200, v15
	ds_write2_b32 v5, v4, v1 offset0:67 offset1:132
	s_waitcnt vmcnt(20)
	v_lshrrev_b32_e32 v1, 16, v3
	v_mul_f16_sdwa v4, v16, v1 dst_sel:DWORD dst_unused:UNUSED_PAD src0_sel:WORD_1 src1_sel:DWORD
	v_fma_f16 v4, v16, v3, v4
	v_mul_f16_sdwa v3, v16, v3 dst_sel:DWORD dst_unused:UNUSED_PAD src0_sel:WORD_1 src1_sel:DWORD
	v_fma_f16 v1, v16, v1, -v3
	v_pack_b32_f16 v1, v4, v1
	s_waitcnt vmcnt(19)
	v_lshrrev_b32_e32 v3, 16, v6
	v_mul_f16_sdwa v4, v17, v3 dst_sel:DWORD dst_unused:UNUSED_PAD src0_sel:WORD_1 src1_sel:DWORD
	v_mul_f16_sdwa v5, v17, v6 dst_sel:DWORD dst_unused:UNUSED_PAD src0_sel:WORD_1 src1_sel:DWORD
	v_fma_f16 v4, v17, v6, v4
	v_fma_f16 v3, v17, v3, -v5
	v_pack_b32_f16 v3, v4, v3
	v_add_u32_e32 v4, 0x400, v15
	ds_write2_b32 v4, v1, v3 offset0:69 offset1:134
	s_waitcnt vmcnt(18)
	v_lshrrev_b32_e32 v1, 16, v8
	s_waitcnt vmcnt(17)
	v_mul_f16_sdwa v3, v9, v1 dst_sel:DWORD dst_unused:UNUSED_PAD src0_sel:WORD_1 src1_sel:DWORD
	v_mul_f16_sdwa v4, v9, v8 dst_sel:DWORD dst_unused:UNUSED_PAD src0_sel:WORD_1 src1_sel:DWORD
	v_fma_f16 v3, v9, v8, v3
	v_fma_f16 v1, v9, v1, -v4
	v_pack_b32_f16 v1, v3, v1
	s_waitcnt vmcnt(16)
	v_lshrrev_b32_e32 v3, 16, v10
	s_waitcnt vmcnt(15)
	v_mul_f16_sdwa v4, v11, v3 dst_sel:DWORD dst_unused:UNUSED_PAD src0_sel:WORD_1 src1_sel:DWORD
	v_mul_f16_sdwa v5, v11, v10 dst_sel:DWORD dst_unused:UNUSED_PAD src0_sel:WORD_1 src1_sel:DWORD
	v_fma_f16 v4, v11, v10, v4
	v_fma_f16 v3, v11, v3, -v5
	v_pack_b32_f16 v3, v4, v3
	v_add_u32_e32 v4, 0x600, v15
	ds_write2_b32 v4, v1, v3 offset0:71 offset1:136
	s_waitcnt vmcnt(14)
	v_lshrrev_b32_e32 v1, 16, v12
	s_waitcnt vmcnt(13)
	v_mul_f16_sdwa v3, v13, v1 dst_sel:DWORD dst_unused:UNUSED_PAD src0_sel:WORD_1 src1_sel:DWORD
	v_mul_f16_sdwa v4, v13, v12 dst_sel:DWORD dst_unused:UNUSED_PAD src0_sel:WORD_1 src1_sel:DWORD
	v_fma_f16 v3, v13, v12, v3
	v_fma_f16 v1, v13, v1, -v4
	v_pack_b32_f16 v1, v3, v1
	s_waitcnt vmcnt(12)
	v_lshrrev_b32_e32 v3, 16, v14
	s_waitcnt vmcnt(11)
	;; [unrolled: 18-line block ×4, first 2 shown]
	v_mul_f16_sdwa v4, v27, v3 dst_sel:DWORD dst_unused:UNUSED_PAD src0_sel:WORD_1 src1_sel:DWORD
	v_mul_f16_sdwa v5, v27, v26 dst_sel:DWORD dst_unused:UNUSED_PAD src0_sel:WORD_1 src1_sel:DWORD
	v_fma_f16 v4, v27, v26, v4
	v_fma_f16 v3, v27, v3, -v5
	v_pack_b32_f16 v3, v4, v3
	v_add_u32_e32 v4, 0xc00, v15
	ds_write2_b32 v4, v1, v3 offset0:77 offset1:142
	s_waitcnt vmcnt(2)
	v_lshrrev_b32_e32 v1, 16, v28
	s_waitcnt vmcnt(1)
	v_mul_f16_sdwa v3, v29, v1 dst_sel:DWORD dst_unused:UNUSED_PAD src0_sel:WORD_1 src1_sel:DWORD
	v_mul_f16_sdwa v4, v29, v28 dst_sel:DWORD dst_unused:UNUSED_PAD src0_sel:WORD_1 src1_sel:DWORD
	v_fma_f16 v3, v29, v28, v3
	v_fma_f16 v1, v29, v1, -v4
	v_pack_b32_f16 v1, v3, v1
	s_waitcnt vmcnt(0)
	v_lshrrev_b32_e32 v3, 16, v0
	v_mul_f16_sdwa v4, v2, v3 dst_sel:DWORD dst_unused:UNUSED_PAD src0_sel:WORD_1 src1_sel:DWORD
	v_fma_f16 v4, v2, v0, v4
	v_mul_f16_sdwa v0, v2, v0 dst_sel:DWORD dst_unused:UNUSED_PAD src0_sel:WORD_1 src1_sel:DWORD
	v_fma_f16 v0, v2, v3, -v0
	v_pack_b32_f16 v0, v4, v0
	v_add_u32_e32 v2, 0xe00, v15
	ds_write2_b32 v2, v1, v0 offset0:79 offset1:144
.LBB0_3:
	s_or_b64 exec, exec, s[8:9]
	s_load_dwordx2 s[2:3], s[4:5], 0x20
	s_load_dwordx2 s[14:15], s[4:5], 0x8
	v_mov_b32_e32 v0, 0
	s_waitcnt lgkmcnt(0)
	s_barrier
	s_waitcnt lgkmcnt(0)
                                        ; implicit-def: $vgpr16
                                        ; implicit-def: $vgpr3
                                        ; implicit-def: $vgpr7
                                        ; implicit-def: $vgpr5
                                        ; implicit-def: $vgpr11
                                        ; implicit-def: $vgpr9
                                        ; implicit-def: $vgpr13
                                        ; implicit-def: $vgpr15
                                        ; implicit-def: $vgpr88
	s_and_saveexec_b64 s[4:5], s[0:1]
	s_cbranch_execz .LBB0_5
; %bb.4:
	v_lshl_add_u32 v16, v45, 2, v43
	v_add_u32_e32 v2, 0x400, v16
	ds_read2_b32 v[0:1], v16 offset1:65
	ds_read2_b32 v[14:15], v16 offset0:130 offset1:195
	ds_read2_b32 v[12:13], v2 offset0:4 offset1:69
	;; [unrolled: 1-line block ×3, first 2 shown]
	v_add_u32_e32 v2, 0x800, v16
	ds_read2_b32 v[10:11], v2 offset0:8 offset1:73
	ds_read2_b32 v[4:5], v2 offset0:138 offset1:203
	v_add_u32_e32 v2, 0xc00, v16
	ds_read2_b32 v[6:7], v2 offset0:12 offset1:77
	ds_read2_b32 v[2:3], v2 offset0:142 offset1:207
	ds_read_b32 v16, v16 offset:4160
	s_waitcnt lgkmcnt(7)
	v_alignbit_b32 v88, v14, v14, 16
.LBB0_5:
	s_or_b64 exec, exec, s[4:5]
	s_waitcnt lgkmcnt(0)
	v_pk_add_f16 v14, v1, v16 neg_lo:[0,1] neg_hi:[0,1]
	s_mov_b32 s27, 0xb5c8
	v_pk_add_f16 v17, v16, v1
	s_movk_i32 s8, 0x3b76
	v_mul_f16_sdwa v36, v14, s27 dst_sel:DWORD dst_unused:UNUSED_PAD src0_sel:WORD_1 src1_sel:DWORD
	v_fma_f16 v18, v17, s8, v36
	v_lshrrev_b32_e32 v23, 16, v17
	s_movk_i32 s9, 0x39e9
	v_mul_f16_e32 v53, 0xb964, v14
	s_mov_b32 s28, 0xbb29
	v_add_f16_e32 v20, v18, v0
	v_fma_f16 v18, v23, s9, -v53
	s_movk_i32 s10, 0x3722
	v_mul_f16_sdwa v57, v14, s28 dst_sel:DWORD dst_unused:UNUSED_PAD src0_sel:WORD_1 src1_sel:DWORD
	v_add_f16_sdwa v21, v18, v0 dst_sel:DWORD dst_unused:UNUSED_PAD src0_sel:DWORD src1_sel:WORD_1
	v_mul_f16_e32 v61, 0xbb29, v14
	v_fma_f16 v18, v17, s10, v57
	s_mov_b32 s30, 0xbbf7
	v_add_f16_e32 v22, v18, v0
	v_fma_f16 v18, v23, s10, -v61
	s_movk_i32 s11, 0x2de8
	v_mul_f16_sdwa v68, v14, s30 dst_sel:DWORD dst_unused:UNUSED_PAD src0_sel:WORD_1 src1_sel:DWORD
	v_add_f16_sdwa v25, v18, v0 dst_sel:DWORD dst_unused:UNUSED_PAD src0_sel:DWORD src1_sel:WORD_1
	v_mul_f16_e32 v72, 0xbbf7, v14
	v_fma_f16 v18, v17, s11, v68
	v_add_f16_e32 v26, v18, v0
	v_fma_f16 v18, v23, s11, -v72
	s_mov_b32 s29, 0xb964
	v_add_f16_sdwa v28, v18, v0 dst_sel:DWORD dst_unused:UNUSED_PAD src0_sel:DWORD src1_sel:WORD_1
	v_pk_add_f16 v18, v3, v88 op_sel:[1,0] op_sel_hi:[0,1]
	v_pk_add_f16 v19, v88, v3 op_sel:[1,0] op_sel_hi:[0,1] neg_lo:[0,1] neg_hi:[0,1]
	v_lshrrev_b32_e32 v27, 16, v18
	v_mul_f16_sdwa v42, v19, s29 dst_sel:DWORD dst_unused:UNUSED_PAD src0_sel:WORD_1 src1_sel:DWORD
	v_fma_f16 v29, v27, s9, v42
	v_mul_f16_e32 v56, 0xbbf7, v19
	s_mov_b32 s16, 0xba62
	v_add_f16_e32 v29, v29, v20
	v_fma_f16 v20, v18, s11, -v56
	s_mov_b32 s18, 0xb8d2
	v_mul_f16_sdwa v62, v19, s16 dst_sel:DWORD dst_unused:UNUSED_PAD src0_sel:WORD_1 src1_sel:DWORD
	v_add_f16_e32 v30, v20, v21
	v_mul_f16_e32 v65, 0xba62, v19
	v_fma_f16 v20, v27, s18, v62
	s_mov_b32 s17, 0xb1e1
	v_add_f16_e32 v22, v20, v22
	v_fma_f16 v20, v18, s18, -v65
	s_mov_b32 s19, 0xbbdd
	v_mul_f16_sdwa v74, v19, s17 dst_sel:DWORD dst_unused:UNUSED_PAD src0_sel:WORD_1 src1_sel:DWORD
	v_add_f16_e32 v25, v20, v25
	v_mul_f16_e32 v78, 0xb1e1, v19
	v_fma_f16 v20, v27, s19, v74
	v_add_f16_e32 v26, v20, v26
	v_fma_f16 v20, v18, s19, -v78
	v_add_f16_e32 v28, v20, v28
	v_pk_add_f16 v20, v15, v2 neg_lo:[0,1] neg_hi:[0,1]
	v_pk_add_f16 v21, v2, v15
	v_mul_f16_sdwa v54, v20, s28 dst_sel:DWORD dst_unused:UNUSED_PAD src0_sel:WORD_1 src1_sel:DWORD
	v_fma_f16 v31, v21, s10, v54
	v_lshrrev_b32_e32 v33, 16, v21
	v_mul_f16_e32 v60, 0xba62, v20
	s_movk_i32 s4, 0x31e1
	v_add_f16_e32 v31, v31, v29
	v_fma_f16 v29, v33, s18, -v60
	v_mul_f16_sdwa v66, v20, s4 dst_sel:DWORD dst_unused:UNUSED_PAD src0_sel:WORD_1 src1_sel:DWORD
	v_add_f16_e32 v30, v29, v30
	v_mul_f16_e32 v70, 0x31e1, v20
	v_fma_f16 v29, v21, s19, v66
	s_movk_i32 s31, 0x3bb2
	v_add_f16_e32 v32, v29, v22
	v_fma_f16 v22, v33, s19, -v70
	s_mov_b32 s20, 0xb461
	v_mul_f16_sdwa v79, v20, s31 dst_sel:DWORD dst_unused:UNUSED_PAD src0_sel:WORD_1 src1_sel:DWORD
	v_add_f16_e32 v25, v22, v25
	v_mul_f16_e32 v83, 0x3bb2, v20
	v_fma_f16 v22, v21, s20, v79
	v_add_f16_e32 v26, v22, v26
	v_fma_f16 v22, v33, s20, -v83
	v_add_f16_e32 v28, v22, v28
	v_pk_add_f16 v22, v12, v7 neg_lo:[0,1] neg_hi:[0,1]
	v_pk_add_f16 v29, v7, v12
	v_mul_f16_sdwa v58, v22, s30 dst_sel:DWORD dst_unused:UNUSED_PAD src0_sel:WORD_1 src1_sel:DWORD
	v_fma_f16 v34, v29, s11, v58
	v_lshrrev_b32_e32 v37, 16, v29
	v_mul_f16_e32 v64, 0xb1e1, v22
	v_add_f16_e32 v34, v34, v31
	v_fma_f16 v31, v37, s19, -v64
	v_mul_f16_sdwa v71, v22, s31 dst_sel:DWORD dst_unused:UNUSED_PAD src0_sel:WORD_1 src1_sel:DWORD
	v_add_f16_e32 v35, v31, v30
	v_mul_f16_e32 v76, 0x3bb2, v22
	v_fma_f16 v30, v29, s20, v71
	s_movk_i32 s22, 0x35c8
	v_add_f16_e32 v32, v30, v32
	v_fma_f16 v30, v37, s20, -v76
	v_mul_f16_sdwa v82, v22, s22 dst_sel:DWORD dst_unused:UNUSED_PAD src0_sel:WORD_1 src1_sel:DWORD
	v_add_f16_e32 v25, v30, v25
	v_fma_f16 v30, v29, s8, v82
	v_mul_f16_e32 v87, 0x35c8, v22
	v_add_f16_e32 v26, v30, v26
	v_fma_f16 v30, v37, s8, -v87
	v_add_f16_e32 v28, v30, v28
	s_mov_b32 s21, 0xbbb2
	v_pk_add_f16 v30, v13, v6 neg_lo:[0,1] neg_hi:[0,1]
	v_pk_add_f16 v31, v6, v13
	v_mul_f16_sdwa v63, v30, s21 dst_sel:DWORD dst_unused:UNUSED_PAD src0_sel:WORD_1 src1_sel:DWORD
	v_fma_f16 v38, v31, s20, v63
	s_mov_b32 s24, 0xbacd
	v_lshrrev_b32_e32 v51, 16, v31
	v_mul_f16_e32 v73, 0x3836, v30
	s_movk_i32 s23, 0x3964
	v_add_f16_e32 v38, v38, v34
	v_fma_f16 v34, v51, s24, -v73
	v_mul_f16_sdwa v80, v30, s23 dst_sel:DWORD dst_unused:UNUSED_PAD src0_sel:WORD_1 src1_sel:DWORD
	v_add_f16_e32 v35, v34, v35
	v_fma_f16 v34, v31, s9, v80
	v_mul_f16_e32 v86, 0x3964, v30
	v_add_f16_e32 v39, v34, v32
	v_fma_f16 v32, v51, s9, -v86
	v_mul_f16_sdwa v91, v30, s28 dst_sel:DWORD dst_unused:UNUSED_PAD src0_sel:WORD_1 src1_sel:DWORD
	v_add_f16_e32 v25, v32, v25
	v_fma_f16 v32, v31, s10, v91
	v_mul_f16_e32 v96, 0xbb29, v30
	v_add_f16_e32 v26, v32, v26
	v_fma_f16 v32, v51, s10, -v96
	v_add_f16_e32 v28, v32, v28
	v_pk_add_f16 v32, v8, v5 neg_lo:[0,1] neg_hi:[0,1]
	v_pk_add_f16 v34, v5, v8
	v_mul_f16_sdwa v69, v32, s16 dst_sel:DWORD dst_unused:UNUSED_PAD src0_sel:WORD_1 src1_sel:DWORD
	v_fma_f16 v40, v34, s18, v69
	v_lshrrev_b32_e32 v55, 16, v34
	v_mul_f16_e32 v77, 0x3bb2, v32
	v_add_f16_e32 v40, v40, v38
	v_fma_f16 v38, v55, s20, -v77
	v_mul_f16_sdwa v85, v32, s27 dst_sel:DWORD dst_unused:UNUSED_PAD src0_sel:WORD_1 src1_sel:DWORD
	v_add_f16_e32 v41, v38, v35
	v_fma_f16 v35, v34, s8, v85
	v_mul_f16_e32 v90, 0xb5c8, v32
	s_mov_b32 s25, 0xb836
	v_add_f16_e32 v39, v35, v39
	v_fma_f16 v35, v55, s8, -v90
	v_mul_f16_sdwa v94, v32, s25 dst_sel:DWORD dst_unused:UNUSED_PAD src0_sel:WORD_1 src1_sel:DWORD
	v_add_f16_e32 v25, v35, v25
	v_fma_f16 v35, v34, s24, v94
	v_mul_f16_e32 v110, 0xb836, v32
	v_add_f16_e32 v26, v35, v26
	v_fma_f16 v35, v55, s24, -v110
	v_add_f16_e32 v28, v35, v28
	v_pk_add_f16 v35, v9, v4 neg_lo:[0,1] neg_hi:[0,1]
	v_pk_add_f16 v38, v4, v9
	v_mul_f16_sdwa v75, v35, s25 dst_sel:DWORD dst_unused:UNUSED_PAD src0_sel:WORD_1 src1_sel:DWORD
	v_fma_f16 v47, v38, s24, v75
	v_lshrrev_b32_e32 v59, 16, v38
	v_mul_f16_e32 v84, 0x3b29, v35
	v_add_f16_e32 v40, v47, v40
	v_fma_f16 v47, v59, s10, -v84
	v_mul_f16_sdwa v89, v35, s30 dst_sel:DWORD dst_unused:UNUSED_PAD src0_sel:WORD_1 src1_sel:DWORD
	v_add_f16_e32 v47, v47, v41
	v_fma_f16 v41, v38, s11, v89
	v_mul_f16_e32 v93, 0xbbf7, v35
	s_movk_i32 s34, 0x3a62
	v_add_f16_e32 v39, v41, v39
	v_fma_f16 v41, v59, s11, -v93
	v_mul_f16_sdwa v109, v35, s34 dst_sel:DWORD dst_unused:UNUSED_PAD src0_sel:WORD_1 src1_sel:DWORD
	v_add_f16_e32 v50, v41, v25
	v_fma_f16 v25, v38, s18, v109
	v_mul_f16_e32 v116, 0x3a62, v35
	v_pk_add_f16 v41, v10, v11 neg_lo:[0,1] neg_hi:[0,1]
	v_add_f16_e32 v26, v25, v26
	v_fma_f16 v25, v59, s18, -v116
	v_pk_add_f16 v52, v11, v10
	v_mul_f16_sdwa v81, v41, s17 dst_sel:DWORD dst_unused:UNUSED_PAD src0_sel:WORD_1 src1_sel:DWORD
	v_add_f16_e32 v28, v25, v28
	v_fma_f16 v25, v52, s19, v81
	v_lshrrev_b32_e32 v67, 16, v52
	v_mul_f16_e32 v117, 0x3964, v41
	v_add_f16_e32 v48, v25, v40
	v_fma_f16 v40, v67, s9, -v117
	s_mov_b32 s4, 0x3b7639e9
	v_add_f16_e32 v40, v40, v28
	s_mov_b32 s5, 0xb964b5c8
	v_pk_mul_f16 v28, v17, s4
	v_pk_fma_f16 v95, v14, s5, v28 op_sel:[0,0,1] op_sel_hi:[1,1,0] neg_lo:[1,0,0] neg_hi:[1,0,0]
	v_pk_fma_f16 v97, v14, s5, v28 op_sel:[0,0,1] op_sel_hi:[1,1,0]
	s_mov_b32 s5, 0xbbf7b964
	s_mov_b32 s4, 0x2de839e9
	v_pk_mul_f16 v28, v19, s5
	v_pk_fma_f16 v98, v18, s4, v28 neg_lo:[0,0,1] neg_hi:[0,0,1]
	v_pk_fma_f16 v99, v18, s4, v28
	s_mov_b32 s4, 0x3722b8d2
	s_mov_b32 s5, 0xba62bb29
	v_pk_mul_f16 v28, v21, s4
	s_mov_b32 s4, 0x2de8bbdd
	v_pk_fma_f16 v100, v20, s5, v28 op_sel:[0,0,1] op_sel_hi:[1,1,0] neg_lo:[1,0,0] neg_hi:[1,0,0]
	v_pk_fma_f16 v101, v20, s5, v28 op_sel:[0,0,1] op_sel_hi:[1,1,0]
	s_mov_b32 s5, 0xb1e1bbf7
	v_pk_mul_f16 v28, v29, s4
	s_mov_b32 s4, 0xb461bacd
	v_pk_fma_f16 v103, v22, s5, v28 op_sel:[0,0,1] op_sel_hi:[1,1,0] neg_lo:[1,0,0] neg_hi:[1,0,0]
	v_pk_fma_f16 v104, v22, s5, v28 op_sel:[0,0,1] op_sel_hi:[1,1,0]
	;; [unrolled: 5-line block ×4, first 2 shown]
	s_mov_b32 s5, 0x3b29b836
	v_pk_mul_f16 v28, v38, s4
	v_pk_fma_f16 v111, v35, s5, v28 op_sel:[0,0,1] op_sel_hi:[1,1,0] neg_lo:[1,0,0] neg_hi:[1,0,0]
	v_pk_fma_f16 v112, v35, s5, v28 op_sel:[0,0,1] op_sel_hi:[1,1,0]
	v_add_f16_sdwa v28, v95, v0 dst_sel:DWORD dst_unused:UNUSED_PAD src0_sel:DWORD src1_sel:WORD_1
	v_add_f16_e32 v28, v98, v28
	v_add_f16_e32 v28, v100, v28
	v_mul_f16_e32 v92, 0x35c8, v41
	v_add_f16_e32 v28, v103, v28
	v_fma_f16 v25, v67, s8, -v92
	v_mul_f16_sdwa v102, v41, s25 dst_sel:DWORD dst_unused:UNUSED_PAD src0_sel:WORD_1 src1_sel:DWORD
	s_mov_b32 s4, 0xbbdd3b76
	v_add_f16_e32 v28, v105, v28
	v_add_f16_e32 v49, v25, v47
	v_fma_f16 v25, v52, s24, v102
	v_mul_f16_e32 v115, 0xb836, v41
	s_mov_b32 s5, 0x35c8b1e1
	v_add_f16_e32 v28, v107, v28
	v_pk_mul_f16 v47, v52, s4
	v_add_f16_e32 v25, v25, v39
	v_fma_f16 v39, v67, s24, -v115
	v_add_f16_e32 v28, v111, v28
	v_pk_fma_f16 v113, v41, s5, v47 op_sel:[0,0,1] op_sel_hi:[1,1,0] neg_lo:[1,0,0] neg_hi:[1,0,0]
	v_add_f16_e32 v39, v39, v50
	v_add_f16_e32 v50, v113, v28
	v_add_f16_sdwa v28, v97, v0 dst_sel:DWORD dst_unused:UNUSED_PAD src0_sel:WORD_1 src1_sel:DWORD
	v_add_f16_sdwa v28, v99, v28 dst_sel:DWORD dst_unused:UNUSED_PAD src0_sel:WORD_1 src1_sel:DWORD
	;; [unrolled: 1-line block ×6, first 2 shown]
	v_mul_f16_sdwa v118, v41, s23 dst_sel:DWORD dst_unused:UNUSED_PAD src0_sel:WORD_1 src1_sel:DWORD
	v_pk_fma_f16 v114, v41, s5, v47 op_sel:[0,0,1] op_sel_hi:[1,1,0]
	v_add_f16_sdwa v47, v112, v28 dst_sel:DWORD dst_unused:UNUSED_PAD src0_sel:WORD_1 src1_sel:DWORD
	v_fma_f16 v28, v52, s9, v118
	s_movk_i32 s33, 0x3836
	s_movk_i32 s26, 0x3b29
	v_add_f16_e32 v28, v28, v26
	v_add_f16_sdwa v26, v114, v47 dst_sel:DWORD dst_unused:UNUSED_PAD src0_sel:WORD_1 src1_sel:DWORD
	v_mul_lo_u16_e32 v47, 17, v44
	s_barrier
	s_and_saveexec_b64 s[4:5], s[0:1]
	s_cbranch_execz .LBB0_7
; %bb.6:
	v_alignbit_b32 v119, v0, v0, 16
	v_alignbit_b32 v88, v88, v88, 16
	v_pk_add_f16 v1, v1, v119 op_sel:[0,1] op_sel_hi:[1,0]
	v_pk_add_f16 v1, v88, v1
	v_pk_add_f16 v1, v15, v1
	v_pk_add_f16 v1, v12, v1
	v_mul_f16_e32 v12, 0xb836, v14
	v_pk_add_f16 v1, v13, v1
	v_fma_f16 v13, v23, s24, v12
	v_mul_f16_e32 v15, 0x3b29, v19
	v_add_f16_sdwa v13, v13, v0 dst_sel:DWORD dst_unused:UNUSED_PAD src0_sel:DWORD src1_sel:WORD_1
	v_fma_f16 v88, v18, s10, v15
	v_add_f16_e32 v13, v88, v13
	v_mul_f16_e32 v88, 0xbbf7, v20
	v_fma_f16 v120, v33, s11, v88
	v_add_f16_e32 v13, v120, v13
	v_mul_f16_e32 v120, 0x3a62, v22
	;; [unrolled: 3-line block ×6, first 2 shown]
	v_fma_f16 v125, v67, s20, v124
	v_add_f16_e32 v13, v125, v13
	v_mul_f16_sdwa v125, v14, s25 dst_sel:DWORD dst_unused:UNUSED_PAD src0_sel:WORD_1 src1_sel:DWORD
	v_fma_f16 v126, v17, s24, -v125
	v_mul_f16_sdwa v127, v19, s26 dst_sel:DWORD dst_unused:UNUSED_PAD src0_sel:WORD_1 src1_sel:DWORD
	v_add_f16_e32 v126, v126, v0
	v_fma_f16 v128, v27, s10, -v127
	v_add_f16_e32 v126, v128, v126
	v_mul_f16_sdwa v128, v20, s30 dst_sel:DWORD dst_unused:UNUSED_PAD src0_sel:WORD_1 src1_sel:DWORD
	v_fma_f16 v129, v21, s11, -v128
	v_add_f16_e32 v126, v129, v126
	v_mul_f16_sdwa v129, v22, s34 dst_sel:DWORD dst_unused:UNUSED_PAD src0_sel:WORD_1 src1_sel:DWORD
	;; [unrolled: 3-line block ×6, first 2 shown]
	v_fma_f16 v134, v52, s20, -v133
	v_add_f16_e32 v126, v134, v126
	v_mul_f16_e32 v134, 0xba62, v14
	v_fma_f16 v135, v23, s18, v134
	v_mul_f16_e32 v136, 0x3bb2, v19
	v_add_f16_sdwa v135, v135, v0 dst_sel:DWORD dst_unused:UNUSED_PAD src0_sel:DWORD src1_sel:WORD_1
	v_fma_f16 v137, v18, s20, v136
	v_add_f16_e32 v135, v137, v135
	v_mul_f16_e32 v137, 0xb5c8, v20
	v_fma_f16 v138, v33, s8, v137
	v_add_f16_e32 v135, v138, v135
	v_mul_f16_e32 v138, 0xb836, v22
	;; [unrolled: 3-line block ×6, first 2 shown]
	v_fma_f16 v143, v67, s10, v142
	v_add_f16_e32 v135, v143, v135
	v_mul_f16_sdwa v143, v14, s16 dst_sel:DWORD dst_unused:UNUSED_PAD src0_sel:WORD_1 src1_sel:DWORD
	v_fma_f16 v144, v17, s18, -v143
	v_mul_f16_sdwa v145, v19, s31 dst_sel:DWORD dst_unused:UNUSED_PAD src0_sel:WORD_1 src1_sel:DWORD
	v_add_f16_e32 v144, v144, v0
	v_fma_f16 v146, v27, s20, -v145
	v_add_f16_e32 v144, v146, v144
	v_mul_f16_sdwa v146, v20, s27 dst_sel:DWORD dst_unused:UNUSED_PAD src0_sel:WORD_1 src1_sel:DWORD
	v_fma_f16 v147, v21, s8, -v146
	v_add_f16_e32 v144, v147, v144
	v_mul_f16_sdwa v147, v22, s25 dst_sel:DWORD dst_unused:UNUSED_PAD src0_sel:WORD_1 src1_sel:DWORD
	v_fma_f16 v148, v29, s24, -v147
	s_movk_i32 s30, 0x3bf7
	v_add_f16_e32 v144, v148, v144
	v_mul_f16_sdwa v148, v30, s30 dst_sel:DWORD dst_unused:UNUSED_PAD src0_sel:WORD_1 src1_sel:DWORD
	v_fma_f16 v149, v31, s11, -v148
	v_add_f16_e32 v144, v149, v144
	v_mul_f16_sdwa v149, v32, s29 dst_sel:DWORD dst_unused:UNUSED_PAD src0_sel:WORD_1 src1_sel:DWORD
	v_fma_f16 v150, v34, s9, -v149
	;; [unrolled: 3-line block ×4, first 2 shown]
	v_add_f16_e32 v144, v152, v144
	v_mul_f16_e32 v152, 0xbbb2, v14
	v_fma_f16 v153, v23, s20, v152
	v_mul_f16_e32 v154, 0x3836, v19
	v_add_f16_sdwa v153, v153, v0 dst_sel:DWORD dst_unused:UNUSED_PAD src0_sel:DWORD src1_sel:WORD_1
	v_fma_f16 v155, v18, s24, v154
	v_add_f16_e32 v153, v155, v153
	v_mul_f16_e32 v155, 0x3964, v20
	v_fma_f16 v156, v33, s9, v155
	v_add_f16_e32 v153, v156, v153
	v_mul_f16_e32 v156, 0xbb29, v22
	;; [unrolled: 3-line block ×6, first 2 shown]
	v_fma_f16 v161, v67, s18, v160
	v_add_f16_e32 v153, v161, v153
	v_mul_f16_sdwa v161, v14, s21 dst_sel:DWORD dst_unused:UNUSED_PAD src0_sel:WORD_1 src1_sel:DWORD
	v_fma_f16 v162, v17, s20, -v161
	v_mul_f16_sdwa v163, v19, s33 dst_sel:DWORD dst_unused:UNUSED_PAD src0_sel:WORD_1 src1_sel:DWORD
	v_add_f16_e32 v162, v162, v0
	v_fma_f16 v164, v27, s24, -v163
	v_add_f16_e32 v162, v164, v162
	v_mul_f16_sdwa v164, v20, s23 dst_sel:DWORD dst_unused:UNUSED_PAD src0_sel:WORD_1 src1_sel:DWORD
	v_fma_f16 v165, v21, s9, -v164
	v_add_f16_e32 v162, v165, v162
	v_mul_f16_sdwa v165, v22, s28 dst_sel:DWORD dst_unused:UNUSED_PAD src0_sel:WORD_1 src1_sel:DWORD
	;; [unrolled: 3-line block ×6, first 2 shown]
	v_fma_f16 v170, v52, s18, -v169
	v_add_f16_e32 v162, v170, v162
	v_mul_f16_e32 v170, 0x2de8, v23
	v_add_f16_e32 v72, v72, v170
	v_mul_f16_e32 v170, 0xbbdd, v18
	v_add_f16_e32 v78, v78, v170
	v_add_f16_sdwa v72, v72, v0 dst_sel:DWORD dst_unused:UNUSED_PAD src0_sel:DWORD src1_sel:WORD_1
	v_add_f16_e32 v72, v78, v72
	v_mul_f16_e32 v78, 0xb461, v33
	v_add_f16_e32 v78, v83, v78
	v_add_f16_e32 v72, v78, v72
	v_mul_f16_e32 v78, 0x3b76, v37
	v_add_f16_e32 v78, v87, v78
	;; [unrolled: 3-line block ×6, first 2 shown]
	v_add_f16_e32 v72, v78, v72
	v_mul_f16_e32 v78, 0x2de8, v17
	v_sub_f16_e32 v68, v78, v68
	v_mul_f16_e32 v78, 0xbbdd, v27
	v_sub_f16_e32 v74, v78, v74
	v_add_f16_e32 v68, v68, v0
	v_add_f16_e32 v68, v74, v68
	v_mul_f16_e32 v74, 0xb461, v21
	v_sub_f16_e32 v74, v74, v79
	v_add_f16_e32 v68, v74, v68
	v_mul_f16_e32 v74, 0x3b76, v29
	v_sub_f16_e32 v74, v74, v82
	;; [unrolled: 3-line block ×6, first 2 shown]
	v_add_f16_e32 v68, v74, v68
	v_mul_f16_e32 v74, 0x3722, v23
	v_add_f16_e32 v61, v61, v74
	v_mul_f16_e32 v74, 0xb8d2, v18
	v_add_f16_e32 v65, v65, v74
	v_add_f16_sdwa v61, v61, v0 dst_sel:DWORD dst_unused:UNUSED_PAD src0_sel:DWORD src1_sel:WORD_1
	v_add_f16_e32 v61, v65, v61
	v_mul_f16_e32 v65, 0xbbdd, v33
	v_add_f16_e32 v65, v70, v65
	v_add_f16_e32 v61, v65, v61
	v_mul_f16_e32 v65, 0xb461, v37
	v_add_f16_e32 v65, v76, v65
	;; [unrolled: 3-line block ×6, first 2 shown]
	v_add_f16_e32 v61, v65, v61
	v_mul_f16_e32 v65, 0x3722, v17
	v_sub_f16_e32 v57, v65, v57
	v_mul_f16_e32 v65, 0xb8d2, v27
	v_sub_f16_e32 v62, v65, v62
	v_add_f16_e32 v57, v57, v0
	v_add_f16_e32 v57, v62, v57
	v_mul_f16_e32 v62, 0xbbdd, v21
	v_sub_f16_e32 v62, v62, v66
	v_add_f16_e32 v57, v62, v57
	v_mul_f16_e32 v62, 0xb461, v29
	v_sub_f16_e32 v62, v62, v71
	;; [unrolled: 3-line block ×6, first 2 shown]
	v_add_f16_e32 v57, v62, v57
	v_mul_f16_e32 v62, 0x39e9, v23
	v_add_f16_e32 v53, v53, v62
	v_mul_f16_e32 v62, 0x2de8, v18
	v_add_f16_e32 v56, v56, v62
	v_add_f16_sdwa v53, v53, v0 dst_sel:DWORD dst_unused:UNUSED_PAD src0_sel:DWORD src1_sel:WORD_1
	v_add_f16_e32 v53, v56, v53
	v_mul_f16_e32 v56, 0xb8d2, v33
	v_add_f16_e32 v56, v60, v56
	v_add_f16_e32 v53, v56, v53
	v_mul_f16_e32 v56, 0xbbdd, v37
	v_add_f16_e32 v56, v64, v56
	;; [unrolled: 3-line block ×3, first 2 shown]
	v_mul_f16_e32 v73, 0x3b76, v17
	v_sub_f16_e32 v36, v73, v36
	v_mul_f16_e32 v73, 0x39e9, v27
	v_sub_f16_e32 v42, v73, v42
	v_add_f16_e32 v36, v36, v0
	v_add_f16_e32 v36, v42, v36
	v_mul_f16_e32 v42, 0x3722, v21
	v_sub_f16_e32 v42, v42, v54
	v_add_f16_e32 v36, v42, v36
	v_mul_f16_e32 v42, 0x2de8, v29
	v_sub_f16_e32 v42, v42, v58
	v_fma_f16 v12, v23, s24, -v12
	v_add_f16_e32 v36, v42, v36
	v_mul_f16_e32 v42, 0xb461, v31
	v_add_f16_sdwa v12, v12, v0 dst_sel:DWORD dst_unused:UNUSED_PAD src0_sel:DWORD src1_sel:WORD_1
	v_fma_f16 v15, v18, s10, -v15
	v_sub_f16_e32 v42, v42, v63
	v_add_f16_e32 v12, v15, v12
	v_fma_f16 v15, v33, s11, -v88
	v_add_f16_e32 v36, v42, v36
	v_mul_f16_e32 v42, 0xb8d2, v34
	v_add_f16_e32 v12, v15, v12
	v_fma_f16 v15, v37, s18, -v120
	v_sub_f16_e32 v42, v42, v69
	v_add_f16_e32 v12, v15, v12
	v_fma_f16 v15, v51, s8, -v121
	v_add_f16_e32 v36, v42, v36
	v_mul_f16_e32 v42, 0xbacd, v38
	v_add_f16_e32 v12, v15, v12
	;; [unrolled: 7-line block ×3, first 2 shown]
	v_fma_f16 v15, v67, s20, -v124
	v_sub_f16_e32 v42, v42, v81
	v_add_f16_e32 v12, v15, v12
	v_fma_f16 v15, v17, s24, v125
	v_add_f16_e32 v36, v42, v36
	v_add_f16_e32 v15, v15, v0
	v_fma_f16 v42, v27, s10, v127
	v_add_f16_e32 v15, v42, v15
	v_fma_f16 v42, v21, s11, v128
	;; [unrolled: 2-line block ×7, first 2 shown]
	v_add_f16_e32 v15, v42, v15
	v_fma_f16 v42, v23, s18, -v134
	v_add_f16_sdwa v42, v42, v0 dst_sel:DWORD dst_unused:UNUSED_PAD src0_sel:DWORD src1_sel:WORD_1
	v_fma_f16 v54, v18, s20, -v136
	v_add_f16_e32 v42, v54, v42
	v_fma_f16 v54, v33, s8, -v137
	v_add_f16_e32 v42, v54, v42
	;; [unrolled: 2-line block ×7, first 2 shown]
	v_fma_f16 v54, v17, s18, v143
	v_add_f16_e32 v54, v54, v0
	v_fma_f16 v58, v27, s20, v145
	v_add_f16_e32 v54, v58, v54
	;; [unrolled: 2-line block ×7, first 2 shown]
	v_fma_f16 v58, v52, s10, v151
	v_fma_f16 v23, v23, s20, -v152
	v_pk_add_f16 v1, v8, v1
	v_add_f16_e32 v53, v56, v53
	v_mul_f16_e32 v56, 0xb461, v55
	v_add_f16_e32 v54, v58, v54
	v_add_f16_sdwa v23, v23, v0 dst_sel:DWORD dst_unused:UNUSED_PAD src0_sel:DWORD src1_sel:WORD_1
	v_fma_f16 v58, v18, s24, -v154
	v_pk_add_f16 v1, v9, v1
	v_add_f16_e32 v56, v77, v56
	v_add_f16_e32 v23, v58, v23
	v_fma_f16 v33, v33, s9, -v155
	v_pk_add_f16 v1, v10, v1
	v_add_f16_e32 v53, v56, v53
	v_mul_f16_e32 v56, 0x3722, v59
	v_add_f16_e32 v23, v33, v23
	v_fma_f16 v33, v37, s10, -v156
	v_pk_add_f16 v1, v11, v1
	v_add_f16_e32 v56, v84, v56
	v_add_f16_e32 v23, v33, v23
	v_fma_f16 v33, v51, s19, -v157
	v_pk_add_f16 v1, v4, v1
	v_add_f16_e32 v53, v56, v53
	v_mul_f16_e32 v56, 0x3b76, v67
	v_add_f16_e32 v23, v33, v23
	v_fma_f16 v33, v55, s11, -v158
	v_pk_add_f16 v1, v5, v1
	v_add_f16_e32 v56, v92, v56
	s_mov_b32 s27, 0xffff
	v_add_f16_e32 v23, v33, v23
	v_fma_f16 v33, v59, s8, -v159
	v_pk_add_f16 v1, v6, v1
	v_add_f16_e32 v53, v56, v53
	v_bfi_b32 v56, s27, v97, v95
	v_add_f16_e32 v23, v33, v23
	v_fma_f16 v33, v67, s18, -v160
	v_pk_add_f16 v1, v7, v1
	v_bfi_b32 v60, s27, v99, v98
	v_add_f16_e32 v23, v33, v23
	v_fma_f16 v33, v17, s20, v161
	v_pk_add_f16 v1, v2, v1
	v_pk_add_f16 v2, v56, v119
	v_bfi_b32 v62, s27, v101, v100
	v_add_f16_e32 v0, v33, v0
	v_fma_f16 v27, v27, s24, v163
	v_pk_add_f16 v2, v60, v2
	v_bfi_b32 v64, s27, v104, v103
	v_add_f16_e32 v0, v27, v0
	v_fma_f16 v27, v21, s9, v164
	;; [unrolled: 4-line block ×6, first 2 shown]
	v_pk_add_f16 v2, v70, v2
	v_add_f16_e32 v0, v27, v0
	v_fma_f16 v27, v52, s18, v169
	v_pk_add_f16 v2, v71, v2
	v_add_f16_e32 v0, v27, v0
	v_add_lshl_u32 v27, v45, v47, 2
	v_pk_add_f16 v1, v3, v1
	v_alignbit_b32 v3, v53, v2, 16
	v_pack_b32_f16 v2, v36, v2
	ds_write2_b32 v27, v2, v3 offset0:1 offset1:2
	v_pack_b32_f16 v2, v68, v72
	v_pack_b32_f16 v3, v57, v61
	ds_write2_b32 v27, v3, v2 offset0:3 offset1:4
	v_pack_b32_f16 v2, v144, v135
	v_pack_b32_f16 v3, v162, v153
	v_pk_add_f16 v1, v16, v1
	ds_write2_b32 v27, v3, v2 offset0:5 offset1:6
	v_pack_b32_f16 v2, v126, v13
	ds_write2_b32 v27, v1, v2 offset1:7
	v_pk_mul_f16 v1, v17, s19 op_sel_hi:[1,0]
	v_pk_fma_f16 v2, v14, s17, v1 op_sel:[0,0,1] op_sel_hi:[1,0,0] neg_lo:[1,0,0] neg_hi:[1,0,0]
	v_pk_mul_f16 v3, v19, s22 op_sel_hi:[1,0]
	v_pk_add_f16 v2, v2, v119
	v_pk_fma_f16 v4, v18, s8, v3 op_sel_hi:[1,0,1] neg_lo:[0,0,1] neg_hi:[0,0,1]
	v_pk_add_f16 v2, v4, v2
	v_pk_mul_f16 v4, v21, s24 op_sel_hi:[1,0]
	v_pk_fma_f16 v5, v20, s25, v4 op_sel:[0,0,1] op_sel_hi:[1,0,0] neg_lo:[1,0,0] neg_hi:[1,0,0]
	v_pk_add_f16 v2, v5, v2
	v_pk_mul_f16 v5, v29, s9 op_sel_hi:[1,0]
	v_pk_fma_f16 v6, v22, s23, v5 op_sel:[0,0,1] op_sel_hi:[1,0,0] neg_lo:[1,0,0] neg_hi:[1,0,0]
	v_pk_add_f16 v2, v6, v2
	v_pk_mul_f16 v6, v31, s18 op_sel_hi:[1,0]
	v_pk_fma_f16 v1, v14, s17, v1 op_sel:[0,0,1] op_sel_hi:[1,0,0]
	v_pk_fma_f16 v7, v30, s16, v6 op_sel:[0,0,1] op_sel_hi:[1,0,0] neg_lo:[1,0,0] neg_hi:[1,0,0]
	v_pk_add_f16 v1, v1, v119
	v_pk_fma_f16 v3, v18, s8, v3 op_sel_hi:[1,0,1]
	v_pk_add_f16 v2, v7, v2
	v_pk_mul_f16 v7, v34, s10 op_sel_hi:[1,0]
	v_pk_add_f16 v1, v3, v1
	v_pk_fma_f16 v3, v20, s25, v4 op_sel:[0,0,1] op_sel_hi:[1,0,0]
	v_pk_fma_f16 v8, v32, s26, v7 op_sel:[0,0,1] op_sel_hi:[1,0,0] neg_lo:[1,0,0] neg_hi:[1,0,0]
	v_pk_add_f16 v1, v3, v1
	v_pk_fma_f16 v3, v22, s23, v5 op_sel:[0,0,1] op_sel_hi:[1,0,0]
	v_pk_add_f16 v2, v8, v2
	v_pk_mul_f16 v8, v38, s20 op_sel_hi:[1,0]
	v_pk_add_f16 v1, v3, v1
	v_pk_fma_f16 v3, v30, s16, v6 op_sel:[0,0,1] op_sel_hi:[1,0,0]
	v_pk_fma_f16 v9, v35, s21, v8 op_sel:[0,0,1] op_sel_hi:[1,0,0] neg_lo:[1,0,0] neg_hi:[1,0,0]
	v_pk_add_f16 v1, v3, v1
	v_pk_fma_f16 v3, v32, s26, v7 op_sel:[0,0,1] op_sel_hi:[1,0,0]
	;; [unrolled: 7-line block ×3, first 2 shown]
	v_pk_add_f16 v2, v10, v2
	v_pk_add_f16 v1, v3, v1
	v_alignbit_b32 v3, v2, v1, 16
	v_alignbit_b32 v1, v1, v2, 16
	ds_write2_b32 v27, v1, v3 offset0:8 offset1:9
	v_pack_b32_f16 v1, v54, v42
	v_pack_b32_f16 v2, v15, v12
	s_mov_b32 s8, 0x5040100
	ds_write2_b32 v27, v2, v1 offset0:10 offset1:11
	v_pack_b32_f16 v0, v0, v23
	v_perm_b32 v1, v40, v28, s8
	ds_write2_b32 v27, v0, v1 offset0:12 offset1:13
	v_perm_b32 v0, v49, v26, s8
	v_perm_b32 v1, v39, v25, s8
	ds_write2_b32 v27, v1, v0 offset0:14 offset1:15
	v_perm_b32 v0, v50, v48, s8
	ds_write_b32 v27, v0 offset:64
.LBB0_7:
	s_or_b64 exec, exec, s[4:5]
	s_load_dwordx4 s[8:11], s[2:3], 0x0
	s_movk_i32 s2, 0xf1
	v_mul_lo_u16_sdwa v0, v44, s2 dst_sel:DWORD dst_unused:UNUSED_PAD src0_sel:BYTE_0 src1_sel:DWORD
	v_lshrrev_b16_e32 v0, 12, v0
	v_mul_lo_u16_e32 v1, 17, v0
	v_sub_u16_e32 v1, v44, v1
	v_mov_b32_e32 v2, 12
	v_mul_u32_u24_sdwa v2, v1, v2 dst_sel:DWORD dst_unused:UNUSED_PAD src0_sel:BYTE_0 src1_sel:DWORD
	v_lshlrev_b32_e32 v2, 2, v2
	s_waitcnt lgkmcnt(0)
	s_barrier
	global_load_dwordx4 v[4:7], v2, s[14:15]
	global_load_dwordx4 v[8:11], v2, s[14:15] offset:16
	global_load_dwordx4 v[12:15], v2, s[14:15] offset:32
	v_add_lshl_u32 v51, v45, v44, 2
	ds_read2_b32 v[17:18], v51 offset1:85
	ds_read2_b32 v[19:20], v51 offset0:170 offset1:255
	v_add_u32_e32 v21, 0x400, v51
	v_add_u32_e32 v16, 0x600, v51
	;; [unrolled: 1-line block ×3, first 2 shown]
	s_waitcnt lgkmcnt(1)
	v_lshrrev_b32_e32 v27, 16, v18
	v_add_u32_e32 v2, 0xc00, v51
	ds_read_b32 v23, v51 offset:4080
	ds_read2_b32 v[21:22], v21 offset0:84 offset1:169
	ds_read2_b32 v[29:30], v16 offset0:126 offset1:211
	;; [unrolled: 1-line block ×4, first 2 shown]
	s_waitcnt lgkmcnt(5)
	v_lshrrev_b32_e32 v35, 16, v19
	v_lshrrev_b32_e32 v36, 16, v20
	s_waitcnt lgkmcnt(3)
	v_lshrrev_b32_e32 v38, 16, v21
	v_lshrrev_b32_e32 v41, 16, v22
	;; [unrolled: 3-line block ×5, first 2 shown]
	v_lshrrev_b32_e32 v37, 16, v23
	s_movk_i32 s4, 0x3b15
	s_movk_i32 s3, 0x388b
	;; [unrolled: 1-line block ×3, first 2 shown]
	s_mov_b32 s5, 0xb5ac
	s_mov_b32 s16, 0xb9fd
	;; [unrolled: 1-line block ×3, first 2 shown]
	v_mul_u32_u24_e32 v0, 0xdd, v0
	v_add_u32_sdwa v0, v0, v1 dst_sel:DWORD dst_unused:UNUSED_PAD src0_sel:DWORD src1_sel:BYTE_0
	s_waitcnt vmcnt(0)
	s_barrier
	v_mul_f16_sdwa v57, v27, v4 dst_sel:DWORD dst_unused:UNUSED_PAD src0_sel:DWORD src1_sel:WORD_1
	v_mul_f16_sdwa v58, v18, v4 dst_sel:DWORD dst_unused:UNUSED_PAD src0_sel:DWORD src1_sel:WORD_1
	;; [unrolled: 1-line block ×3, first 2 shown]
	v_fma_f16 v18, v18, v4, -v57
	v_mul_f16_sdwa v60, v19, v5 dst_sel:DWORD dst_unused:UNUSED_PAD src0_sel:DWORD src1_sel:WORD_1
	v_mul_f16_sdwa v61, v36, v6 dst_sel:DWORD dst_unused:UNUSED_PAD src0_sel:DWORD src1_sel:WORD_1
	v_fma_f16 v19, v19, v5, -v59
	v_add_f16_e32 v57, v17, v18
	v_mul_f16_sdwa v62, v20, v6 dst_sel:DWORD dst_unused:UNUSED_PAD src0_sel:DWORD src1_sel:WORD_1
	v_mul_f16_sdwa v63, v38, v7 dst_sel:DWORD dst_unused:UNUSED_PAD src0_sel:DWORD src1_sel:WORD_1
	v_fma_f16 v27, v27, v4, v58
	v_fma_f16 v20, v20, v6, -v61
	v_add_f16_e32 v57, v57, v19
	v_mul_f16_sdwa v64, v21, v7 dst_sel:DWORD dst_unused:UNUSED_PAD src0_sel:DWORD src1_sel:WORD_1
	v_mul_f16_sdwa v65, v41, v8 dst_sel:DWORD dst_unused:UNUSED_PAD src0_sel:DWORD src1_sel:WORD_1
	v_fma_f16 v35, v35, v5, v60
	v_fma_f16 v21, v21, v7, -v63
	v_add_f16_sdwa v58, v17, v27 dst_sel:DWORD dst_unused:UNUSED_PAD src0_sel:WORD_1 src1_sel:DWORD
	v_add_f16_e32 v57, v57, v20
	v_mul_f16_sdwa v66, v22, v8 dst_sel:DWORD dst_unused:UNUSED_PAD src0_sel:DWORD src1_sel:WORD_1
	v_mul_f16_sdwa v67, v42, v9 dst_sel:DWORD dst_unused:UNUSED_PAD src0_sel:DWORD src1_sel:WORD_1
	v_fma_f16 v36, v36, v6, v62
	v_fma_f16 v22, v22, v8, -v65
	v_add_f16_e32 v58, v58, v35
	v_add_f16_e32 v57, v57, v21
	v_mul_f16_sdwa v68, v29, v9 dst_sel:DWORD dst_unused:UNUSED_PAD src0_sel:DWORD src1_sel:WORD_1
	v_mul_f16_sdwa v69, v52, v10 dst_sel:DWORD dst_unused:UNUSED_PAD src0_sel:DWORD src1_sel:WORD_1
	v_fma_f16 v38, v38, v7, v64
	v_fma_f16 v29, v29, v9, -v67
	v_add_f16_e32 v58, v58, v36
	;; [unrolled: 6-line block ×6, first 2 shown]
	v_add_f16_e32 v57, v57, v32
	v_mul_f16_sdwa v78, v34, v14 dst_sel:DWORD dst_unused:UNUSED_PAD src0_sel:DWORD src1_sel:WORD_1
	v_mul_f16_sdwa v79, v37, v15 dst_sel:DWORD dst_unused:UNUSED_PAD src0_sel:DWORD src1_sel:WORD_1
	;; [unrolled: 1-line block ×3, first 2 shown]
	v_fma_f16 v54, v54, v12, v74
	v_fma_f16 v34, v34, v14, -v77
	v_add_f16_e32 v58, v58, v53
	v_add_f16_e32 v57, v57, v33
	v_fma_f16 v55, v55, v13, v76
	v_fma_f16 v23, v23, v15, -v79
	v_fma_f16 v37, v37, v15, v80
	v_add_f16_e32 v58, v58, v54
	v_add_f16_e32 v57, v57, v34
	v_fma_f16 v56, v56, v14, v78
	v_add_f16_e32 v58, v58, v55
	v_add_f16_e32 v57, v57, v23
	;; [unrolled: 1-line block ×3, first 2 shown]
	v_sub_f16_e32 v18, v18, v23
	v_sub_f16_e32 v23, v27, v37
	v_add_f16_e32 v58, v58, v56
	v_add_f16_e32 v60, v27, v37
	v_mul_f16_e32 v27, 0xb770, v23
	v_mul_f16_e32 v61, 0xb770, v18
	;; [unrolled: 1-line block ×12, first 2 shown]
	v_add_f16_e32 v58, v58, v37
	v_fma_f16 v37, v59, s4, -v27
	v_fma_f16 v62, v60, s4, v61
	v_fma_f16 v27, v59, s4, v27
	v_fma_f16 v61, v60, s4, -v61
	v_fma_f16 v64, v59, s3, -v63
	v_fma_f16 v66, v60, s3, v65
	v_fma_f16 v63, v59, s3, v63
	v_fma_f16 v65, v60, s3, -v65
	;; [unrolled: 4-line block ×6, first 2 shown]
	v_add_f16_e32 v37, v17, v37
	v_add_f16_sdwa v62, v17, v62 dst_sel:DWORD dst_unused:UNUSED_PAD src0_sel:WORD_1 src1_sel:DWORD
	v_add_f16_e32 v27, v17, v27
	v_add_f16_sdwa v61, v17, v61 dst_sel:DWORD dst_unused:UNUSED_PAD src0_sel:WORD_1 src1_sel:DWORD
	;; [unrolled: 2-line block ×12, first 2 shown]
	v_add_f16_e32 v18, v19, v34
	v_sub_f16_e32 v19, v19, v34
	v_sub_f16_e32 v34, v35, v56
	v_add_f16_e32 v59, v35, v56
	v_mul_f16_e32 v35, 0xba95, v34
	v_fma_f16 v56, v18, s3, -v35
	v_add_f16_e32 v37, v56, v37
	v_mul_f16_e32 v56, 0xba95, v19
	v_fma_f16 v35, v18, s3, v35
	v_fma_f16 v60, v59, s3, v56
	v_add_f16_e32 v27, v35, v27
	v_fma_f16 v35, v59, s3, -v56
	v_mul_f16_e32 v56, 0xbb7b, v34
	v_add_f16_e32 v60, v60, v62
	v_add_f16_e32 v35, v35, v61
	v_fma_f16 v61, v18, s5, -v56
	v_mul_f16_e32 v62, 0xbb7b, v19
	v_fma_f16 v56, v18, s5, v56
	v_add_f16_e32 v61, v61, v64
	v_fma_f16 v64, v59, s5, v62
	v_add_f16_e32 v56, v56, v63
	v_fma_f16 v62, v59, s5, -v62
	v_mul_f16_e32 v63, 0xb3a8, v34
	v_add_f16_e32 v64, v64, v66
	v_add_f16_e32 v62, v62, v65
	v_fma_f16 v65, v18, s17, -v63
	v_mul_f16_e32 v66, 0xb3a8, v19
	v_fma_f16 v63, v18, s17, v63
	v_add_f16_e32 v65, v65, v68
	v_fma_f16 v68, v59, s17, v66
	v_add_f16_e32 v63, v63, v67
	v_fma_f16 v66, v59, s17, -v66
	v_mul_f16_e32 v67, 0x394e, v34
	v_add_f16_e32 v68, v68, v70
	v_add_f16_e32 v66, v66, v69
	v_fma_f16 v69, v18, s16, -v67
	v_mul_f16_e32 v70, 0x394e, v19
	v_fma_f16 v67, v18, s16, v67
	v_add_f16_e32 v69, v69, v72
	v_fma_f16 v72, v59, s16, v70
	v_add_f16_e32 v67, v67, v71
	v_fma_f16 v70, v59, s16, -v70
	v_mul_f16_e32 v71, 0x3bf1, v34
	v_add_f16_e32 v72, v72, v74
	v_add_f16_e32 v70, v70, v73
	v_fma_f16 v73, v18, s2, -v71
	v_mul_f16_e32 v74, 0x3bf1, v19
	v_add_f16_e32 v73, v73, v76
	v_fma_f16 v76, v59, s2, v74
	v_fma_f16 v74, v59, s2, -v74
	v_mul_f16_e32 v19, 0x3770, v19
	v_add_f16_e32 v74, v74, v77
	v_fma_f16 v77, v59, s4, v19
	v_fma_f16 v19, v59, s4, -v19
	v_fma_f16 v71, v18, s2, v71
	v_mul_f16_e32 v34, 0x3770, v34
	v_add_f16_e32 v17, v19, v17
	v_add_f16_e32 v19, v20, v33
	v_sub_f16_e32 v20, v20, v33
	v_sub_f16_e32 v33, v36, v55
	v_add_f16_e32 v71, v71, v75
	v_fma_f16 v75, v18, s4, -v34
	v_fma_f16 v18, v18, s4, v34
	v_mul_f16_e32 v34, 0xbbf1, v33
	v_add_f16_e32 v18, v18, v23
	v_add_f16_e32 v23, v36, v55
	v_fma_f16 v36, v19, s2, -v34
	v_add_f16_e32 v36, v36, v37
	v_mul_f16_e32 v37, 0xbbf1, v20
	v_fma_f16 v34, v19, s2, v34
	v_add_f16_e32 v27, v34, v27
	v_fma_f16 v34, v23, s2, -v37
	v_add_f16_e32 v34, v34, v35
	v_mul_f16_e32 v35, 0xb3a8, v33
	v_fma_f16 v55, v23, s2, v37
	v_fma_f16 v37, v19, s17, -v35
	v_mul_f16_e32 v59, 0xb3a8, v20
	v_fma_f16 v35, v19, s17, v35
	v_add_f16_e32 v55, v55, v60
	v_fma_f16 v60, v23, s17, v59
	v_add_f16_e32 v35, v35, v56
	v_fma_f16 v56, v23, s17, -v59
	v_mul_f16_e32 v59, 0x3b7b, v33
	v_add_f16_e32 v37, v37, v61
	v_fma_f16 v61, v19, s5, -v59
	v_fma_f16 v59, v19, s5, v59
	v_add_f16_e32 v56, v56, v62
	v_mul_f16_e32 v62, 0x3b7b, v20
	v_add_f16_e32 v59, v59, v63
	v_mul_f16_e32 v63, 0x3770, v33
	v_add_f16_e32 v60, v60, v64
	v_add_f16_e32 v61, v61, v65
	v_fma_f16 v64, v23, s5, v62
	v_fma_f16 v62, v23, s5, -v62
	v_fma_f16 v65, v19, s4, -v63
	v_fma_f16 v63, v19, s4, v63
	v_add_f16_e32 v62, v62, v66
	v_mul_f16_e32 v66, 0x3770, v20
	v_add_f16_e32 v63, v63, v67
	v_mul_f16_e32 v67, 0xba95, v33
	v_add_f16_e32 v64, v64, v68
	v_add_f16_e32 v65, v65, v69
	v_fma_f16 v68, v23, s4, v66
	v_fma_f16 v66, v23, s4, -v66
	v_fma_f16 v69, v19, s3, -v67
	v_fma_f16 v67, v19, s3, v67
	v_mul_f16_e32 v33, 0xb94e, v33
	v_add_f16_e32 v66, v66, v70
	v_mul_f16_e32 v70, 0xba95, v20
	v_add_f16_e32 v67, v67, v71
	v_fma_f16 v71, v19, s16, -v33
	v_mul_f16_e32 v20, 0xb94e, v20
	v_fma_f16 v19, v19, s16, v33
	v_add_f16_e32 v68, v68, v72
	v_add_f16_e32 v69, v69, v73
	v_fma_f16 v72, v23, s3, v70
	v_fma_f16 v70, v23, s3, -v70
	v_fma_f16 v73, v23, s16, v20
	v_add_f16_e32 v18, v19, v18
	v_fma_f16 v19, v23, s16, -v20
	v_sub_f16_e32 v23, v38, v54
	v_add_f16_e32 v17, v19, v17
	v_add_f16_e32 v19, v21, v32
	v_sub_f16_e32 v21, v21, v32
	v_mul_f16_e32 v32, 0xbb7b, v23
	v_fma_f16 v33, v19, s5, -v32
	v_add_f16_e32 v20, v38, v54
	v_add_f16_e32 v33, v33, v36
	v_mul_f16_e32 v36, 0xbb7b, v21
	v_fma_f16 v32, v19, s5, v32
	v_add_f16_e32 v27, v32, v27
	v_fma_f16 v32, v20, s5, -v36
	v_add_f16_e32 v32, v32, v34
	v_mul_f16_e32 v34, 0x394e, v23
	v_fma_f16 v38, v20, s5, v36
	v_fma_f16 v36, v19, s16, -v34
	v_add_f16_e32 v36, v36, v37
	v_mul_f16_e32 v37, 0x394e, v21
	v_fma_f16 v34, v19, s16, v34
	v_fma_f16 v54, v20, s16, v37
	v_add_f16_e32 v34, v34, v35
	v_fma_f16 v35, v20, s16, -v37
	v_mul_f16_e32 v37, 0x3770, v23
	v_add_f16_e32 v38, v38, v55
	v_fma_f16 v55, v19, s4, -v37
	v_fma_f16 v37, v19, s4, v37
	v_add_f16_e32 v35, v35, v56
	v_mul_f16_e32 v56, 0x3770, v21
	v_add_f16_e32 v37, v37, v59
	v_mul_f16_e32 v59, 0xbbf1, v23
	v_add_f16_e32 v54, v54, v60
	v_add_f16_e32 v55, v55, v61
	v_fma_f16 v60, v20, s4, v56
	v_fma_f16 v56, v20, s4, -v56
	v_fma_f16 v61, v19, s2, -v59
	v_fma_f16 v59, v19, s2, v59
	v_add_f16_e32 v56, v56, v62
	v_mul_f16_e32 v62, 0xbbf1, v21
	v_add_f16_e32 v59, v59, v63
	v_mul_f16_e32 v63, 0x33a8, v23
	v_add_f16_e32 v60, v60, v64
	v_add_f16_e32 v61, v61, v65
	v_fma_f16 v64, v20, s2, v62
	v_fma_f16 v62, v20, s2, -v62
	v_fma_f16 v65, v19, s17, -v63
	v_fma_f16 v63, v19, s17, v63
	v_mul_f16_e32 v23, 0x3a95, v23
	v_add_f16_e32 v62, v62, v66
	v_mul_f16_e32 v66, 0x33a8, v21
	v_add_f16_e32 v63, v63, v67
	v_fma_f16 v67, v19, s3, -v23
	v_mul_f16_e32 v21, 0x3a95, v21
	v_fma_f16 v19, v19, s3, v23
	v_add_f16_e32 v18, v19, v18
	v_fma_f16 v19, v20, s3, -v21
	v_add_f16_e32 v65, v65, v69
	v_fma_f16 v69, v20, s3, v21
	v_add_f16_e32 v17, v19, v17
	v_add_f16_e32 v19, v22, v31
	v_sub_f16_e32 v21, v22, v31
	v_sub_f16_e32 v22, v41, v53
	v_mul_f16_e32 v23, 0xb94e, v22
	v_fma_f16 v31, v19, s16, -v23
	v_add_f16_e32 v64, v64, v68
	v_fma_f16 v68, v20, s17, v66
	v_fma_f16 v66, v20, s17, -v66
	v_add_f16_e32 v20, v41, v53
	v_add_f16_e32 v31, v31, v33
	v_mul_f16_e32 v33, 0xb94e, v21
	v_fma_f16 v23, v19, s16, v23
	v_add_f16_e32 v23, v23, v27
	v_fma_f16 v27, v20, s16, -v33
	v_add_f16_e32 v32, v27, v32
	v_mul_f16_e32 v27, 0x3bf1, v22
	v_fma_f16 v41, v20, s16, v33
	v_fma_f16 v33, v19, s2, -v27
	v_add_f16_e32 v33, v33, v36
	v_mul_f16_e32 v36, 0x3bf1, v21
	v_fma_f16 v27, v19, s2, v27
	v_add_f16_e32 v34, v27, v34
	v_fma_f16 v27, v20, s2, -v36
	v_add_f16_e32 v35, v27, v35
	v_mul_f16_e32 v27, 0xba95, v22
	v_add_f16_e32 v38, v41, v38
	v_fma_f16 v41, v20, s2, v36
	v_fma_f16 v36, v19, s3, -v27
	v_mul_f16_e32 v53, 0xba95, v21
	v_fma_f16 v27, v19, s3, v27
	v_add_f16_e32 v37, v27, v37
	v_fma_f16 v27, v20, s3, -v53
	v_add_f16_e32 v41, v41, v54
	v_fma_f16 v54, v20, s3, v53
	v_add_f16_e32 v53, v27, v56
	v_mul_f16_e32 v27, 0x33a8, v22
	v_add_f16_e32 v60, v54, v60
	v_fma_f16 v54, v19, s17, -v27
	v_add_f16_e32 v56, v54, v61
	v_mul_f16_e32 v54, 0x33a8, v21
	v_fma_f16 v27, v19, s17, v27
	v_add_f16_e32 v59, v27, v59
	v_fma_f16 v27, v20, s17, -v54
	v_add_f16_e32 v62, v27, v62
	v_mul_f16_e32 v27, 0x3770, v22
	v_add_f16_e32 v36, v36, v55
	v_fma_f16 v55, v20, s17, v54
	v_fma_f16 v54, v19, s4, -v27
	v_add_f16_e32 v75, v75, v79
	v_add_f16_e32 v70, v70, v74
	;; [unrolled: 1-line block ×4, first 2 shown]
	v_mul_f16_e32 v54, 0x3770, v21
	v_fma_f16 v27, v19, s4, v27
	v_add_f16_e32 v76, v76, v78
	v_add_f16_e32 v77, v77, v80
	;; [unrolled: 1-line block ×5, first 2 shown]
	v_fma_f16 v27, v20, s4, -v54
	v_mul_f16_e32 v22, 0xbb7b, v22
	v_add_f16_e32 v72, v72, v76
	v_add_f16_e32 v73, v73, v77
	;; [unrolled: 1-line block ×4, first 2 shown]
	v_fma_f16 v27, v19, s5, -v22
	v_mul_f16_e32 v21, 0xbb7b, v21
	v_fma_f16 v19, v19, s5, v22
	v_add_f16_e32 v68, v68, v72
	v_add_f16_e32 v69, v69, v73
	v_fma_f16 v55, v20, s4, v54
	v_add_f16_e32 v67, v27, v67
	v_fma_f16 v27, v20, s5, v21
	v_add_f16_e32 v18, v19, v18
	v_fma_f16 v19, v20, s5, -v21
	v_sub_f16_e32 v22, v42, v52
	v_add_f16_e32 v65, v55, v68
	v_add_f16_e32 v68, v27, v69
	;; [unrolled: 1-line block ×4, first 2 shown]
	v_sub_f16_e32 v21, v29, v30
	v_mul_f16_e32 v27, 0xb3a8, v22
	v_add_f16_e32 v20, v42, v52
	v_fma_f16 v29, v19, s17, -v27
	v_mul_f16_e32 v30, 0xb3a8, v21
	v_fma_f16 v27, v19, s17, v27
	v_add_f16_e32 v27, v27, v23
	v_fma_f16 v23, v20, s17, -v30
	v_add_f16_e32 v54, v23, v32
	v_mul_f16_e32 v23, 0x3770, v22
	v_add_f16_e32 v29, v29, v31
	v_fma_f16 v31, v20, s17, v30
	v_fma_f16 v30, v19, s4, -v23
	v_mul_f16_e32 v32, 0x3770, v21
	v_fma_f16 v23, v19, s4, v23
	v_add_f16_e32 v42, v23, v34
	v_fma_f16 v23, v20, s4, -v32
	v_add_f16_e32 v55, v23, v35
	v_mul_f16_e32 v23, 0xb94e, v22
	v_add_f16_e32 v30, v30, v33
	v_fma_f16 v33, v20, s4, v32
	v_fma_f16 v32, v19, s16, -v23
	v_mul_f16_e32 v34, 0xb94e, v21
	v_fma_f16 v23, v19, s16, v23
	v_add_f16_e32 v33, v33, v41
	v_add_f16_e32 v41, v23, v37
	v_fma_f16 v23, v20, s16, -v34
	v_add_f16_e32 v31, v31, v38
	v_add_f16_e32 v53, v23, v53
	v_mul_f16_e32 v23, 0x3a95, v22
	v_mul_f16_e32 v38, 0xbb7b, v22
	v_fma_f16 v35, v20, s16, v34
	v_fma_f16 v34, v19, s3, -v23
	v_fma_f16 v52, v19, s5, -v38
	v_add_f16_e32 v34, v34, v56
	v_fma_f16 v23, v19, s3, v23
	v_add_f16_e32 v56, v52, v64
	v_mul_f16_e32 v52, 0xbb7b, v21
	v_add_f16_e32 v32, v32, v36
	v_mul_f16_e32 v36, 0x3a95, v21
	v_add_f16_e32 v23, v23, v59
	v_fma_f16 v59, v20, s5, v52
	v_fma_f16 v52, v20, s5, -v52
	v_mul_f16_e32 v22, 0x3bf1, v22
	v_add_f16_e32 v35, v35, v60
	v_fma_f16 v37, v20, s3, v36
	v_add_f16_e32 v60, v52, v66
	v_fma_f16 v52, v19, s2, -v22
	v_mul_f16_e32 v21, 0x3bf1, v21
	v_add_f16_e32 v37, v37, v61
	v_fma_f16 v36, v20, s3, -v36
	v_add_f16_e32 v61, v52, v67
	v_fma_f16 v52, v20, s2, v21
	v_add_f16_e32 v36, v36, v62
	v_fma_f16 v38, v19, s5, v38
	;; [unrolled: 2-line block ×3, first 2 shown]
	v_add_lshl_u32 v52, v45, v0, 2
	v_pack_b32_f16 v0, v57, v58
	v_pack_b32_f16 v1, v29, v31
	v_add_f16_e32 v59, v59, v65
	v_add_f16_e32 v18, v19, v18
	v_fma_f16 v19, v20, s2, -v21
	ds_write2_b32 v52, v0, v1 offset1:17
	v_pack_b32_f16 v0, v30, v33
	v_pack_b32_f16 v1, v32, v35
	v_add_f16_e32 v17, v19, v17
	ds_write2_b32 v52, v0, v1 offset0:34 offset1:51
	v_pack_b32_f16 v0, v34, v37
	v_pack_b32_f16 v1, v56, v59
	v_add_f16_e32 v38, v38, v63
	ds_write2_b32 v52, v0, v1 offset0:68 offset1:85
	v_pack_b32_f16 v0, v61, v62
	v_pack_b32_f16 v1, v18, v17
	ds_write2_b32 v52, v0, v1 offset0:102 offset1:119
	v_pack_b32_f16 v0, v38, v60
	v_pack_b32_f16 v1, v23, v36
	;; [unrolled: 3-line block ×3, first 2 shown]
	ds_write2_b32 v52, v0, v1 offset0:170 offset1:187
	v_pack_b32_f16 v0, v27, v54
	ds_write_b32 v52, v0 offset:816
	v_add_u32_e32 v0, 0x200, v51
	s_waitcnt lgkmcnt(0)
	s_barrier
	ds_read2_b32 v[35:36], v51 offset1:85
	ds_read2_b32 v[29:30], v0 offset0:93 offset1:178
	ds_read2_b32 v[31:32], v16 offset0:58 offset1:143
	;; [unrolled: 1-line block ×4, first 2 shown]
	v_cmp_gt_u16_e64 s[2:3], 51, v44
	s_and_saveexec_b64 s[4:5], s[2:3]
	s_cbranch_execz .LBB0_9
; %bb.8:
	v_add_u32_e32 v0, 0x280, v51
	ds_read2_b32 v[41:42], v0 offset0:10 offset1:231
	v_add_u32_e32 v0, 0x980, v51
	ds_read2_b32 v[27:28], v0 offset0:4 offset1:225
	ds_read_b32 v25, v51 offset:4216
	s_waitcnt lgkmcnt(2)
	v_lshrrev_b32_e32 v53, 16, v41
	v_lshrrev_b32_e32 v55, 16, v42
	s_waitcnt lgkmcnt(1)
	v_lshrrev_b32_e32 v54, 16, v27
	v_lshrrev_b32_e32 v40, 16, v28
	s_waitcnt lgkmcnt(0)
	v_lshrrev_b32_e32 v39, 16, v25
.LBB0_9:
	s_or_b64 exec, exec, s[4:5]
	v_lshlrev_b32_e32 v0, 4, v44
	global_load_dwordx4 v[16:19], v0, s[14:15] offset:816
	v_add_u32_e32 v0, 0x550, v0
	global_load_dwordx4 v[20:23], v0, s[14:15] offset:816
	v_add_co_u32_e32 v0, vcc, 0xaa, v44
	s_movk_i32 s16, 0xffcd
	v_addc_co_u32_e64 v1, s[4:5], 0, 0, vcc
	v_add_co_u32_e32 v3, vcc, s16, v44
	v_addc_co_u32_e64 v56, s[4:5], 0, -1, vcc
	v_cndmask_b32_e64 v1, v56, v1, s[2:3]
	v_cndmask_b32_e64 v0, v3, v0, s[2:3]
	v_lshlrev_b64 v[0:1], 4, v[0:1]
	v_mov_b32_e32 v2, s15
	v_add_co_u32_e32 v0, vcc, s14, v0
	v_addc_co_u32_e32 v1, vcc, v2, v1, vcc
	global_load_dwordx4 v[0:3], v[0:1], off offset:816
	s_waitcnt lgkmcnt(3)
	v_lshrrev_b32_e32 v57, 16, v29
	s_waitcnt lgkmcnt(2)
	v_lshrrev_b32_e32 v58, 16, v31
	;; [unrolled: 2-line block ×3, first 2 shown]
	v_lshrrev_b32_e32 v61, 16, v30
	s_waitcnt lgkmcnt(0)
	v_lshrrev_b32_e32 v60, 16, v37
	v_lshrrev_b32_e32 v62, 16, v32
	;; [unrolled: 1-line block ×4, first 2 shown]
	s_movk_i32 s4, 0x3b9c
	s_movk_i32 s5, 0x38b4
	;; [unrolled: 1-line block ×3, first 2 shown]
	s_mov_b32 s15, 0xbb9c
	s_mov_b32 s16, 0xb8b4
	v_lshrrev_b32_e32 v56, 16, v35
	v_lshrrev_b32_e32 v65, 16, v36
	s_waitcnt vmcnt(2)
	v_mul_f16_sdwa v66, v57, v16 dst_sel:DWORD dst_unused:UNUSED_PAD src0_sel:DWORD src1_sel:WORD_1
	v_mul_f16_sdwa v68, v58, v17 dst_sel:DWORD dst_unused:UNUSED_PAD src0_sel:DWORD src1_sel:WORD_1
	;; [unrolled: 1-line block ×7, first 2 shown]
	v_fma_f16 v66, v29, v16, -v66
	v_fma_f16 v68, v31, v17, -v68
	v_fma_f16 v69, v58, v17, v69
	v_fma_f16 v58, v33, v18, -v70
	s_waitcnt vmcnt(1)
	v_mul_f16_sdwa v29, v61, v20 dst_sel:DWORD dst_unused:UNUSED_PAD src0_sel:DWORD src1_sel:WORD_1
	v_mul_f16_sdwa v72, v60, v19 dst_sel:DWORD dst_unused:UNUSED_PAD src0_sel:DWORD src1_sel:WORD_1
	v_fma_f16 v67, v57, v16, v67
	v_fma_f16 v70, v59, v18, v71
	;; [unrolled: 1-line block ×3, first 2 shown]
	v_mul_f16_sdwa v31, v30, v20 dst_sel:DWORD dst_unused:UNUSED_PAD src0_sel:DWORD src1_sel:WORD_1
	v_mul_f16_sdwa v33, v62, v21 dst_sel:DWORD dst_unused:UNUSED_PAD src0_sel:DWORD src1_sel:WORD_1
	;; [unrolled: 1-line block ×3, first 2 shown]
	v_fma_f16 v74, v30, v20, -v29
	v_add_f16_e32 v30, v68, v58
	v_fma_f16 v37, v37, v19, -v72
	v_mul_f16_sdwa v57, v32, v21 dst_sel:DWORD dst_unused:UNUSED_PAD src0_sel:DWORD src1_sel:WORD_1
	v_mul_f16_sdwa v71, v34, v22 dst_sel:DWORD dst_unused:UNUSED_PAD src0_sel:DWORD src1_sel:WORD_1
	;; [unrolled: 1-line block ×4, first 2 shown]
	v_fma_f16 v75, v61, v20, v31
	v_fma_f16 v76, v32, v21, -v33
	v_fma_f16 v78, v34, v22, -v59
	v_sub_f16_e32 v32, v67, v60
	v_fma_f16 v31, v30, -0.5, v35
	s_waitcnt vmcnt(0)
	v_mul_f16_sdwa v30, v55, v0 dst_sel:DWORD dst_unused:UNUSED_PAD src0_sel:DWORD src1_sel:WORD_1
	v_mul_f16_sdwa v33, v42, v0 dst_sel:DWORD dst_unused:UNUSED_PAD src0_sel:DWORD src1_sel:WORD_1
	;; [unrolled: 1-line block ×4, first 2 shown]
	v_fma_f16 v77, v62, v21, v57
	v_fma_f16 v71, v63, v22, v71
	v_fma_f16 v63, v38, v23, -v72
	v_fma_f16 v72, v64, v23, v73
	v_mul_f16_sdwa v38, v27, v1 dst_sel:DWORD dst_unused:UNUSED_PAD src0_sel:DWORD src1_sel:WORD_1
	v_mul_f16_sdwa v62, v25, v3 dst_sel:DWORD dst_unused:UNUSED_PAD src0_sel:DWORD src1_sel:WORD_1
	v_fma_f16 v73, v42, v0, -v30
	v_fma_f16 v55, v55, v0, v33
	v_fma_f16 v27, v27, v1, -v34
	v_fma_f16 v80, v25, v3, -v61
	v_fma_f16 v25, v32, s4, v31
	v_sub_f16_e32 v34, v69, v70
	v_sub_f16_e32 v30, v66, v68
	;; [unrolled: 1-line block ×3, first 2 shown]
	v_fma_f16 v25, v34, s5, v25
	v_add_f16_e32 v33, v30, v33
	v_fma_f16 v30, v33, s14, v25
	v_fma_f16 v25, v32, s15, v31
	;; [unrolled: 1-line block ×4, first 2 shown]
	v_add_f16_e32 v25, v66, v37
	v_fma_f16 v25, v25, -0.5, v35
	v_add_f16_e32 v29, v35, v66
	v_fma_f16 v54, v54, v1, v38
	v_fma_f16 v33, v34, s15, v25
	v_sub_f16_e32 v35, v68, v66
	v_sub_f16_e32 v38, v58, v37
	v_fma_f16 v25, v34, s4, v25
	v_add_f16_e32 v35, v35, v38
	v_fma_f16 v25, v32, s16, v25
	v_fma_f16 v34, v35, s14, v25
	v_add_f16_e32 v25, v56, v67
	v_add_f16_e32 v25, v25, v69
	v_mul_f16_sdwa v57, v40, v2 dst_sel:DWORD dst_unused:UNUSED_PAD src0_sel:DWORD src1_sel:WORD_1
	v_add_f16_e32 v25, v25, v70
	v_add_f16_e32 v29, v29, v68
	v_mul_f16_sdwa v59, v28, v2 dst_sel:DWORD dst_unused:UNUSED_PAD src0_sel:DWORD src1_sel:WORD_1
	v_fma_f16 v28, v28, v2, -v57
	v_add_f16_e32 v57, v25, v60
	v_add_f16_e32 v25, v69, v70
	;; [unrolled: 1-line block ×3, first 2 shown]
	v_fma_f16 v33, v32, s5, v33
	v_fma_f16 v25, v25, -0.5, v56
	v_sub_f16_e32 v32, v66, v37
	v_add_f16_e32 v29, v29, v37
	v_fma_f16 v81, v39, v3, v62
	v_fma_f16 v33, v35, s14, v33
	;; [unrolled: 1-line block ×3, first 2 shown]
	v_sub_f16_e32 v37, v68, v58
	v_sub_f16_e32 v38, v67, v69
	;; [unrolled: 1-line block ×3, first 2 shown]
	v_fma_f16 v25, v32, s4, v25
	v_add_f16_e32 v38, v38, v39
	v_fma_f16 v25, v37, s5, v25
	v_fma_f16 v79, v40, v2, v59
	;; [unrolled: 1-line block ×3, first 2 shown]
	v_add_f16_e32 v25, v67, v60
	v_fma_f16 v35, v37, s16, v35
	v_fma_f16 v25, v25, -0.5, v56
	v_fma_f16 v58, v38, s14, v35
	v_fma_f16 v35, v37, s4, v25
	v_sub_f16_e32 v38, v69, v67
	v_sub_f16_e32 v39, v70, v60
	v_fma_f16 v25, v37, s15, v25
	v_add_f16_e32 v38, v38, v39
	v_fma_f16 v25, v32, s5, v25
	v_fma_f16 v61, v38, s14, v25
	v_add_f16_e32 v25, v36, v74
	v_add_f16_e32 v25, v25, v76
	;; [unrolled: 1-line block ×3, first 2 shown]
	v_fma_f16 v35, v32, s16, v35
	v_add_f16_e32 v32, v25, v63
	v_add_f16_e32 v25, v76, v78
	v_fma_f16 v25, v25, -0.5, v36
	v_sub_f16_e32 v37, v75, v72
	v_fma_f16 v60, v38, s14, v35
	v_fma_f16 v35, v37, s4, v25
	v_sub_f16_e32 v39, v77, v71
	v_sub_f16_e32 v38, v74, v76
	;; [unrolled: 1-line block ×3, first 2 shown]
	v_fma_f16 v25, v37, s15, v25
	v_fma_f16 v35, v39, s5, v35
	v_add_f16_e32 v38, v38, v40
	v_fma_f16 v25, v39, s16, v25
	v_fma_f16 v35, v38, s14, v35
	v_fma_f16 v38, v38, s14, v25
	v_add_f16_e32 v25, v74, v63
	v_fma_f16 v25, v25, -0.5, v36
	v_fma_f16 v36, v39, s15, v25
	v_sub_f16_e32 v40, v76, v74
	v_sub_f16_e32 v42, v78, v63
	v_fma_f16 v25, v39, s4, v25
	v_add_f16_e32 v40, v40, v42
	v_fma_f16 v25, v37, s16, v25
	v_fma_f16 v36, v37, s5, v36
	v_fma_f16 v37, v40, s14, v25
	v_add_f16_e32 v25, v65, v75
	v_add_f16_e32 v25, v25, v77
	;; [unrolled: 1-line block ×5, first 2 shown]
	v_fma_f16 v25, v25, -0.5, v65
	v_sub_f16_e32 v39, v74, v63
	v_fma_f16 v36, v40, s14, v36
	v_fma_f16 v40, v39, s15, v25
	v_sub_f16_e32 v42, v76, v78
	v_sub_f16_e32 v56, v75, v77
	;; [unrolled: 1-line block ×3, first 2 shown]
	v_fma_f16 v25, v39, s4, v25
	v_add_f16_e32 v56, v56, v63
	v_fma_f16 v25, v42, s5, v25
	v_fma_f16 v64, v56, s14, v25
	v_add_f16_e32 v25, v75, v72
	v_fma_f16 v40, v42, s16, v40
	v_fma_f16 v25, v25, -0.5, v65
	v_fma_f16 v63, v56, s14, v40
	v_fma_f16 v40, v42, s4, v25
	v_sub_f16_e32 v56, v77, v75
	v_sub_f16_e32 v65, v71, v72
	v_fma_f16 v25, v42, s15, v25
	v_add_f16_e32 v56, v56, v65
	v_fma_f16 v25, v39, s5, v25
	v_fma_f16 v66, v56, s14, v25
	v_add_f16_e32 v25, v41, v73
	v_add_f16_e32 v25, v25, v27
	;; [unrolled: 1-line block ×3, first 2 shown]
	v_fma_f16 v40, v39, s16, v40
	v_add_f16_e32 v39, v25, v80
	v_add_f16_e32 v25, v27, v28
	v_fma_f16 v25, v25, -0.5, v41
	v_sub_f16_e32 v42, v55, v81
	v_fma_f16 v65, v56, s14, v40
	v_fma_f16 v40, v42, s4, v25
	v_sub_f16_e32 v56, v54, v79
	v_sub_f16_e32 v67, v73, v27
	v_sub_f16_e32 v68, v80, v28
	v_fma_f16 v25, v42, s15, v25
	v_fma_f16 v40, v56, s5, v40
	v_add_f16_e32 v67, v67, v68
	v_fma_f16 v25, v56, s16, v25
	v_fma_f16 v40, v67, s14, v40
	;; [unrolled: 1-line block ×3, first 2 shown]
	v_add_f16_e32 v67, v73, v80
	v_fma_f16 v67, v67, -0.5, v41
	v_fma_f16 v41, v56, s15, v67
	v_fma_f16 v56, v56, s4, v67
	;; [unrolled: 1-line block ×4, first 2 shown]
	v_add_f16_e32 v56, v53, v55
	v_add_f16_e32 v56, v56, v54
	;; [unrolled: 1-line block ×3, first 2 shown]
	v_sub_f16_e32 v68, v27, v73
	v_sub_f16_e32 v69, v28, v80
	v_add_f16_e32 v67, v56, v81
	v_add_f16_e32 v56, v54, v79
	;; [unrolled: 1-line block ×3, first 2 shown]
	v_fma_f16 v56, v56, -0.5, v53
	v_sub_f16_e32 v71, v73, v80
	v_fma_f16 v41, v68, s14, v41
	v_fma_f16 v42, v68, s14, v42
	;; [unrolled: 1-line block ×3, first 2 shown]
	v_sub_f16_e32 v27, v27, v28
	v_fma_f16 v28, v27, s16, v68
	v_sub_f16_e32 v68, v55, v54
	v_sub_f16_e32 v69, v81, v79
	v_add_f16_e32 v69, v68, v69
	v_fma_f16 v68, v69, s14, v28
	v_fma_f16 v28, v71, s4, v56
	;; [unrolled: 1-line block ×4, first 2 shown]
	v_add_f16_e32 v28, v55, v81
	v_fma_f16 v28, v28, -0.5, v53
	v_fma_f16 v53, v27, s4, v28
	v_sub_f16_e32 v54, v54, v55
	v_sub_f16_e32 v55, v79, v81
	v_fma_f16 v27, v27, s15, v28
	v_fma_f16 v53, v71, s16, v53
	v_add_f16_e32 v54, v54, v55
	v_fma_f16 v27, v71, s5, v27
	v_lshl_add_u32 v28, v44, 2, v46
	v_fma_f16 v70, v54, s14, v53
	v_fma_f16 v71, v54, s14, v27
	v_pack_b32_f16 v53, v30, v58
	v_pack_b32_f16 v54, v33, v60
	v_add_u32_e32 v55, 0x300, v28
	ds_write2_b32 v55, v53, v54 offset0:29 offset1:250
	v_pack_b32_f16 v53, v34, v61
	v_pack_b32_f16 v54, v31, v59
	v_add_u32_e32 v55, 0xa00, v28
	v_pack_b32_f16 v27, v29, v57
	ds_write2_b32 v55, v53, v54 offset0:23 offset1:244
	v_add_u32_e32 v53, v43, v46
	v_pack_b32_f16 v54, v32, v62
	ds_write2_b32 v28, v27, v54 offset1:85
	v_pack_b32_f16 v27, v35, v63
	v_pack_b32_f16 v54, v36, v65
	v_add_u32_e32 v55, 0x480, v53
	ds_write2_b32 v55, v27, v54 offset0:18 offset1:239
	v_pack_b32_f16 v27, v37, v66
	v_pack_b32_f16 v54, v38, v64
	v_add_u32_e32 v55, 0xb80, v53
	ds_write2_b32 v55, v27, v54 offset0:12 offset1:233
	s_and_saveexec_b64 s[4:5], s[2:3]
	s_cbranch_execz .LBB0_11
; %bb.10:
	s_mov_b32 s14, 0x5040100
	v_perm_b32 v27, v67, v39, s14
	v_perm_b32 v54, v68, v40, s14
	v_add_u32_e32 v55, 0x280, v28
	ds_write2_b32 v55, v27, v54 offset0:10 offset1:231
	v_perm_b32 v27, v70, v41, s14
	v_perm_b32 v54, v71, v42, s14
	v_add_u32_e32 v55, 0x980, v28
	ds_write2_b32 v55, v27, v54 offset0:4 offset1:225
	v_perm_b32 v27, v69, v25, s14
	ds_write_b32 v28, v27 offset:4216
.LBB0_11:
	s_or_b64 exec, exec, s[4:5]
	s_waitcnt lgkmcnt(0)
	s_barrier
	s_and_saveexec_b64 s[4:5], s[0:1]
	s_cbranch_execz .LBB0_13
; %bb.12:
	v_mov_b32_e32 v27, s7
	v_add_co_u32_e32 v56, vcc, s6, v43
	v_addc_co_u32_e32 v27, vcc, 0, v27, vcc
	v_add_co_u32_e32 v54, vcc, 0x1144, v56
	v_addc_co_u32_e32 v55, vcc, 0, v27, vcc
	global_load_dword v82, v[54:55], off offset:260
	global_load_dword v83, v[54:55], off offset:520
	;; [unrolled: 1-line block ×3, first 2 shown]
	v_add_co_u32_e32 v72, vcc, 0x1000, v56
	global_load_dword v85, v[54:55], off offset:1040
	global_load_dword v86, v[54:55], off offset:1300
	;; [unrolled: 1-line block ×3, first 2 shown]
	v_addc_co_u32_e32 v73, vcc, 0, v27, vcc
	global_load_dword v88, v[72:73], off offset:324
	global_load_dword v89, v[54:55], off offset:1820
	;; [unrolled: 1-line block ×4, first 2 shown]
	v_add_u32_e32 v92, 0x400, v28
	ds_read2_b32 v[72:73], v28 offset1:65
	ds_read2_b32 v[74:75], v28 offset0:130 offset1:195
	ds_read2_b32 v[76:77], v92 offset0:4 offset1:69
	;; [unrolled: 1-line block ×3, first 2 shown]
	global_load_dword v93, v[54:55], off offset:2600
	global_load_dword v94, v[54:55], off offset:2860
	;; [unrolled: 1-line block ×5, first 2 shown]
	v_add_co_u32_e32 v80, vcc, 0x2000, v56
	global_load_dword v56, v[54:55], off offset:3900
	v_addc_co_u32_e32 v81, vcc, 0, v27, vcc
	global_load_dword v80, v[80:81], off offset:388
	s_waitcnt lgkmcnt(3)
	v_lshrrev_b32_e32 v54, 16, v73
	s_waitcnt lgkmcnt(2)
	v_lshrrev_b32_e32 v55, 16, v74
	v_lshrrev_b32_e32 v98, 16, v75
	s_waitcnt lgkmcnt(1)
	v_lshrrev_b32_e32 v81, 16, v76
	v_lshrrev_b32_e32 v27, 16, v72
	;; [unrolled: 1-line block ×3, first 2 shown]
	s_waitcnt lgkmcnt(0)
	v_lshrrev_b32_e32 v100, 16, v78
	v_lshrrev_b32_e32 v101, 16, v79
	s_waitcnt vmcnt(16)
	v_mul_f16_sdwa v102, v54, v82 dst_sel:DWORD dst_unused:UNUSED_PAD src0_sel:DWORD src1_sel:WORD_1
	v_mul_f16_sdwa v103, v73, v82 dst_sel:DWORD dst_unused:UNUSED_PAD src0_sel:DWORD src1_sel:WORD_1
	s_waitcnt vmcnt(15)
	v_mul_f16_sdwa v104, v55, v83 dst_sel:DWORD dst_unused:UNUSED_PAD src0_sel:DWORD src1_sel:WORD_1
	v_mul_f16_sdwa v105, v74, v83 dst_sel:DWORD dst_unused:UNUSED_PAD src0_sel:DWORD src1_sel:WORD_1
	s_waitcnt vmcnt(14)
	v_mul_f16_sdwa v106, v98, v84 dst_sel:DWORD dst_unused:UNUSED_PAD src0_sel:DWORD src1_sel:WORD_1
	v_mul_f16_sdwa v107, v75, v84 dst_sel:DWORD dst_unused:UNUSED_PAD src0_sel:DWORD src1_sel:WORD_1
	s_waitcnt vmcnt(13)
	v_mul_f16_sdwa v108, v81, v85 dst_sel:DWORD dst_unused:UNUSED_PAD src0_sel:DWORD src1_sel:WORD_1
	v_mul_f16_sdwa v109, v76, v85 dst_sel:DWORD dst_unused:UNUSED_PAD src0_sel:DWORD src1_sel:WORD_1
	s_waitcnt vmcnt(12)
	v_mul_f16_sdwa v110, v99, v86 dst_sel:DWORD dst_unused:UNUSED_PAD src0_sel:DWORD src1_sel:WORD_1
	v_mul_f16_sdwa v111, v77, v86 dst_sel:DWORD dst_unused:UNUSED_PAD src0_sel:DWORD src1_sel:WORD_1
	s_waitcnt vmcnt(10)
	v_mul_f16_sdwa v114, v27, v88 dst_sel:DWORD dst_unused:UNUSED_PAD src0_sel:DWORD src1_sel:WORD_1
	v_mul_f16_sdwa v115, v72, v88 dst_sel:DWORD dst_unused:UNUSED_PAD src0_sel:DWORD src1_sel:WORD_1
	v_fma_f16 v73, v73, v82, -v102
	v_fma_f16 v54, v54, v82, v103
	v_fma_f16 v74, v74, v83, -v104
	v_fma_f16 v55, v55, v83, v105
	;; [unrolled: 2-line block ×6, first 2 shown]
	v_pack_b32_f16 v54, v73, v54
	v_pack_b32_f16 v55, v74, v55
	;; [unrolled: 1-line block ×6, first 2 shown]
	ds_write2_b32 v28, v55, v73 offset0:130 offset1:195
	ds_write2_b32 v92, v74, v75 offset0:4 offset1:69
	ds_write2_b32 v28, v27, v54 offset1:65
	v_add_u32_e32 v74, 0x800, v28
	ds_read2_b32 v[54:55], v74 offset0:8 offset1:73
	v_mul_f16_sdwa v112, v100, v87 dst_sel:DWORD dst_unused:UNUSED_PAD src0_sel:DWORD src1_sel:WORD_1
	v_mul_f16_sdwa v113, v78, v87 dst_sel:DWORD dst_unused:UNUSED_PAD src0_sel:DWORD src1_sel:WORD_1
	s_waitcnt vmcnt(9)
	v_mul_f16_sdwa v27, v101, v89 dst_sel:DWORD dst_unused:UNUSED_PAD src0_sel:DWORD src1_sel:WORD_1
	v_mul_f16_sdwa v72, v79, v89 dst_sel:DWORD dst_unused:UNUSED_PAD src0_sel:DWORD src1_sel:WORD_1
	v_fma_f16 v78, v78, v87, -v112
	v_fma_f16 v84, v100, v87, v113
	v_fma_f16 v27, v79, v89, -v27
	v_fma_f16 v72, v101, v89, v72
	v_pack_b32_f16 v76, v78, v84
	v_pack_b32_f16 v27, v27, v72
	ds_write2_b32 v92, v76, v27 offset0:134 offset1:199
	s_waitcnt lgkmcnt(1)
	v_lshrrev_b32_e32 v27, 16, v54
	s_waitcnt vmcnt(8)
	v_mul_f16_sdwa v72, v27, v90 dst_sel:DWORD dst_unused:UNUSED_PAD src0_sel:DWORD src1_sel:WORD_1
	v_fma_f16 v72, v54, v90, -v72
	v_mul_f16_sdwa v54, v54, v90 dst_sel:DWORD dst_unused:UNUSED_PAD src0_sel:DWORD src1_sel:WORD_1
	v_fma_f16 v27, v27, v90, v54
	v_lshrrev_b32_e32 v54, 16, v55
	v_pack_b32_f16 v27, v72, v27
	s_waitcnt vmcnt(7)
	v_mul_f16_sdwa v72, v54, v91 dst_sel:DWORD dst_unused:UNUSED_PAD src0_sel:DWORD src1_sel:WORD_1
	v_fma_f16 v75, v55, v91, -v72
	ds_read2_b32 v[72:73], v74 offset0:138 offset1:203
	v_mul_f16_sdwa v55, v55, v91 dst_sel:DWORD dst_unused:UNUSED_PAD src0_sel:DWORD src1_sel:WORD_1
	v_fma_f16 v54, v54, v91, v55
	v_pack_b32_f16 v54, v75, v54
	ds_write2_b32 v74, v27, v54 offset0:8 offset1:73
	s_waitcnt lgkmcnt(1)
	v_lshrrev_b32_e32 v27, 16, v72
	s_waitcnt vmcnt(6)
	v_mul_f16_sdwa v54, v27, v93 dst_sel:DWORD dst_unused:UNUSED_PAD src0_sel:DWORD src1_sel:WORD_1
	v_mul_f16_sdwa v55, v72, v93 dst_sel:DWORD dst_unused:UNUSED_PAD src0_sel:DWORD src1_sel:WORD_1
	v_fma_f16 v54, v72, v93, -v54
	v_fma_f16 v27, v27, v93, v55
	v_lshrrev_b32_e32 v72, 16, v73
	v_pack_b32_f16 v27, v54, v27
	s_waitcnt vmcnt(5)
	v_mul_f16_sdwa v54, v72, v94 dst_sel:DWORD dst_unused:UNUSED_PAD src0_sel:DWORD src1_sel:WORD_1
	v_add_u32_e32 v76, 0xc00, v28
	v_fma_f16 v75, v73, v94, -v54
	ds_read2_b32 v[54:55], v76 offset0:12 offset1:77
	v_mul_f16_sdwa v73, v73, v94 dst_sel:DWORD dst_unused:UNUSED_PAD src0_sel:DWORD src1_sel:WORD_1
	v_fma_f16 v72, v72, v94, v73
	v_pack_b32_f16 v72, v75, v72
	ds_write2_b32 v74, v27, v72 offset0:138 offset1:203
	s_waitcnt lgkmcnt(1)
	v_lshrrev_b32_e32 v27, 16, v54
	s_waitcnt vmcnt(4)
	v_mul_f16_sdwa v72, v27, v95 dst_sel:DWORD dst_unused:UNUSED_PAD src0_sel:DWORD src1_sel:WORD_1
	v_fma_f16 v72, v54, v95, -v72
	v_mul_f16_sdwa v54, v54, v95 dst_sel:DWORD dst_unused:UNUSED_PAD src0_sel:DWORD src1_sel:WORD_1
	v_fma_f16 v27, v27, v95, v54
	v_lshrrev_b32_e32 v54, 16, v55
	v_pack_b32_f16 v27, v72, v27
	s_waitcnt vmcnt(3)
	v_mul_f16_sdwa v72, v54, v96 dst_sel:DWORD dst_unused:UNUSED_PAD src0_sel:DWORD src1_sel:WORD_1
	v_fma_f16 v74, v55, v96, -v72
	ds_read2_b32 v[72:73], v76 offset0:142 offset1:207
	v_mul_f16_sdwa v55, v55, v96 dst_sel:DWORD dst_unused:UNUSED_PAD src0_sel:DWORD src1_sel:WORD_1
	v_fma_f16 v54, v54, v96, v55
	v_pack_b32_f16 v54, v74, v54
	ds_write2_b32 v76, v27, v54 offset0:12 offset1:77
	s_waitcnt lgkmcnt(1)
	v_lshrrev_b32_e32 v27, 16, v72
	s_waitcnt vmcnt(2)
	v_mul_f16_sdwa v54, v27, v97 dst_sel:DWORD dst_unused:UNUSED_PAD src0_sel:DWORD src1_sel:WORD_1
	v_mul_f16_sdwa v55, v72, v97 dst_sel:DWORD dst_unused:UNUSED_PAD src0_sel:DWORD src1_sel:WORD_1
	v_fma_f16 v54, v72, v97, -v54
	v_fma_f16 v27, v27, v97, v55
	v_pack_b32_f16 v27, v54, v27
	v_lshrrev_b32_e32 v54, 16, v73
	ds_read_b32 v72, v28 offset:4160
	s_waitcnt vmcnt(1)
	v_mul_f16_sdwa v55, v54, v56 dst_sel:DWORD dst_unused:UNUSED_PAD src0_sel:DWORD src1_sel:WORD_1
	v_fma_f16 v55, v73, v56, -v55
	v_mul_f16_sdwa v73, v73, v56 dst_sel:DWORD dst_unused:UNUSED_PAD src0_sel:DWORD src1_sel:WORD_1
	v_fma_f16 v54, v54, v56, v73
	v_pack_b32_f16 v54, v55, v54
	ds_write2_b32 v76, v27, v54 offset0:142 offset1:207
	s_waitcnt lgkmcnt(1)
	v_lshrrev_b32_e32 v27, 16, v72
	s_waitcnt vmcnt(0)
	v_mul_f16_sdwa v54, v27, v80 dst_sel:DWORD dst_unused:UNUSED_PAD src0_sel:DWORD src1_sel:WORD_1
	v_mul_f16_sdwa v55, v72, v80 dst_sel:DWORD dst_unused:UNUSED_PAD src0_sel:DWORD src1_sel:WORD_1
	v_fma_f16 v54, v72, v80, -v54
	v_fma_f16 v27, v27, v80, v55
	v_pack_b32_f16 v27, v54, v27
	ds_write_b32 v28, v27 offset:4160
.LBB0_13:
	s_or_b64 exec, exec, s[4:5]
	s_waitcnt lgkmcnt(0)
	s_barrier
	s_and_saveexec_b64 s[4:5], s[0:1]
	s_cbranch_execz .LBB0_15
; %bb.14:
	v_add_u32_e32 v25, 0x400, v28
	ds_read2_b32 v[29:30], v28 offset1:65
	ds_read2_b32 v[33:34], v28 offset0:130 offset1:195
	ds_read2_b32 v[31:32], v25 offset0:4 offset1:69
	;; [unrolled: 1-line block ×3, first 2 shown]
	v_add_u32_e32 v25, 0x800, v28
	ds_read2_b32 v[37:38], v25 offset0:8 offset1:73
	ds_read2_b32 v[39:40], v25 offset0:138 offset1:203
	v_add_u32_e32 v25, 0xc00, v28
	ds_read2_b32 v[41:42], v25 offset0:12 offset1:77
	ds_read2_b32 v[25:26], v25 offset0:142 offset1:207
	ds_read_b32 v48, v28 offset:4160
	s_waitcnt lgkmcnt(8)
	v_lshrrev_b32_e32 v57, 16, v29
	v_lshrrev_b32_e32 v58, 16, v30
	s_waitcnt lgkmcnt(7)
	v_lshrrev_b32_e32 v60, 16, v33
	v_lshrrev_b32_e32 v61, 16, v34
	;; [unrolled: 3-line block ×8, first 2 shown]
	s_waitcnt lgkmcnt(0)
	v_lshrrev_b32_e32 v50, 16, v48
.LBB0_15:
	s_or_b64 exec, exec, s[4:5]
	v_sub_f16_e32 v90, v58, v50
	v_add_f16_e32 v72, v48, v30
	v_add_f16_e32 v93, v50, v58
	s_movk_i32 s14, 0x3722
	v_mul_f16_e32 v102, 0xbb29, v90
	v_sub_f16_e32 v92, v60, v49
	v_sub_f16_e32 v73, v30, v48
	s_mov_b32 s17, 0xbb29
	v_mul_f16_e32 v105, 0x3722, v93
	v_fma_f16 v27, v72, s14, -v102
	v_add_f16_e32 v74, v26, v33
	v_add_f16_e32 v95, v49, v60
	s_mov_b32 s16, 0xb8d2
	v_mul_f16_e32 v106, 0xba62, v92
	v_add_f16_e32 v27, v29, v27
	v_fma_f16 v54, v73, s17, v105
	s_movk_i32 s15, 0x2de8
	v_mul_f16_e32 v111, 0xbbf7, v90
	v_sub_f16_e32 v75, v33, v26
	s_mov_b32 s20, 0xba62
	v_mul_f16_e32 v109, 0xb8d2, v95
	v_fma_f16 v76, v74, s16, -v106
	v_add_f16_e32 v54, v57, v54
	s_mov_b32 s19, 0xbbf7
	v_mul_f16_e32 v115, 0x2de8, v93
	v_fma_f16 v55, v72, s15, -v111
	v_add_f16_e32 v27, v76, v27
	v_fma_f16 v76, v75, s20, v109
	s_mov_b32 s18, 0xbbdd
	v_mul_f16_e32 v116, 0xb1e1, v92
	v_add_f16_e32 v55, v29, v55
	v_fma_f16 v56, v73, s19, v115
	v_add_f16_e32 v54, v76, v54
	s_mov_b32 s21, 0xb1e1
	v_mul_f16_e32 v119, 0xbbdd, v95
	v_fma_f16 v76, v74, s18, -v116
	v_add_f16_e32 v56, v57, v56
	v_add_f16_e32 v55, v76, v55
	v_fma_f16 v76, v75, s21, v119
	v_sub_f16_e32 v94, v61, v69
	v_add_f16_e32 v56, v76, v56
	v_add_f16_e32 v76, v25, v34
	;; [unrolled: 1-line block ×3, first 2 shown]
	v_mul_f16_e32 v110, 0x31e1, v94
	v_sub_f16_e32 v78, v34, v25
	s_movk_i32 s37, 0x31e1
	v_mul_f16_e32 v114, 0xbbdd, v97
	v_fma_f16 v77, v76, s18, -v110
	v_add_f16_e32 v27, v77, v27
	v_fma_f16 v77, v78, s37, v114
	s_mov_b32 s22, 0xb461
	v_mul_f16_e32 v120, 0x3bb2, v94
	v_add_f16_e32 v54, v77, v54
	s_movk_i32 s25, 0x3bb2
	v_mul_f16_e32 v124, 0xb461, v97
	v_fma_f16 v77, v76, s22, -v120
	v_add_f16_e32 v55, v77, v55
	v_fma_f16 v77, v78, s25, v124
	v_sub_f16_e32 v96, v59, v71
	v_add_f16_e32 v56, v77, v56
	v_add_f16_e32 v77, v42, v31
	;; [unrolled: 1-line block ×3, first 2 shown]
	v_mul_f16_e32 v113, 0x3bb2, v96
	v_sub_f16_e32 v80, v31, v42
	v_mul_f16_e32 v117, 0xb461, v99
	v_fma_f16 v79, v77, s22, -v113
	v_add_f16_e32 v27, v79, v27
	v_fma_f16 v79, v80, s25, v117
	s_movk_i32 s23, 0x3b76
	v_mul_f16_e32 v123, 0x35c8, v96
	v_add_f16_e32 v54, v79, v54
	s_movk_i32 s27, 0x35c8
	v_mul_f16_e32 v128, 0x3b76, v99
	v_fma_f16 v79, v77, s23, -v123
	v_add_f16_e32 v55, v79, v55
	v_fma_f16 v79, v80, s27, v128
	v_sub_f16_e32 v98, v62, v70
	v_add_f16_e32 v56, v79, v56
	v_add_f16_e32 v79, v41, v32
	;; [unrolled: 1-line block ×3, first 2 shown]
	s_movk_i32 s24, 0x39e9
	v_mul_f16_e32 v118, 0x3964, v98
	v_sub_f16_e32 v82, v32, v41
	s_movk_i32 s30, 0x3964
	v_mul_f16_e32 v122, 0x39e9, v101
	v_fma_f16 v81, v79, s24, -v118
	v_add_f16_e32 v27, v81, v27
	v_fma_f16 v81, v82, s30, v122
	v_mul_f16_e32 v127, 0xbb29, v98
	v_add_f16_e32 v54, v81, v54
	v_mul_f16_e32 v131, 0x3722, v101
	v_fma_f16 v81, v79, s14, -v127
	v_add_f16_e32 v55, v81, v55
	v_fma_f16 v81, v82, s17, v131
	v_sub_f16_e32 v100, v63, v68
	v_add_f16_e32 v56, v81, v56
	v_add_f16_e32 v81, v40, v35
	;; [unrolled: 1-line block ×3, first 2 shown]
	v_mul_f16_e32 v121, 0xb5c8, v100
	v_sub_f16_e32 v84, v35, v40
	s_mov_b32 s29, 0xb5c8
	v_mul_f16_e32 v126, 0x3b76, v104
	v_fma_f16 v83, v81, s23, -v121
	v_add_f16_e32 v27, v83, v27
	v_fma_f16 v83, v84, s29, v126
	s_mov_b32 s26, 0xbacd
	v_mul_f16_e32 v132, 0xb836, v100
	v_add_f16_e32 v54, v83, v54
	s_mov_b32 s28, 0xb836
	v_mul_f16_e32 v135, 0xbacd, v104
	v_fma_f16 v83, v81, s26, -v132
	v_add_f16_e32 v55, v83, v55
	v_fma_f16 v83, v84, s28, v135
	v_sub_f16_e32 v103, v65, v67
	v_add_f16_e32 v56, v83, v56
	v_add_f16_e32 v83, v39, v36
	;; [unrolled: 1-line block ×3, first 2 shown]
	v_mul_f16_e32 v125, 0xbbf7, v103
	v_sub_f16_e32 v86, v36, v39
	v_mul_f16_e32 v130, 0x2de8, v108
	v_fma_f16 v85, v83, s15, -v125
	v_add_f16_e32 v27, v85, v27
	v_fma_f16 v85, v86, s19, v130
	v_mul_f16_e32 v134, 0x3a62, v103
	v_add_f16_e32 v88, v85, v54
	s_movk_i32 s35, 0x3a62
	v_mul_f16_e32 v137, 0xb8d2, v108
	v_fma_f16 v54, v83, s16, -v134
	v_sub_f16_e32 v107, v66, v64
	v_add_f16_e32 v89, v54, v55
	v_fma_f16 v54, v86, s35, v137
	v_add_f16_e32 v85, v38, v37
	v_add_f16_e32 v112, v64, v66
	v_mul_f16_e32 v129, 0xb836, v107
	v_add_f16_e32 v56, v54, v56
	v_sub_f16_e32 v87, v37, v38
	v_mul_f16_e32 v133, 0xbacd, v112
	v_fma_f16 v54, v85, s26, -v129
	v_add_f16_e32 v54, v54, v27
	v_fma_f16 v27, v87, s28, v133
	v_mul_f16_e32 v136, 0x3964, v107
	v_mul_f16_e32 v138, 0x39e9, v112
	v_add_f16_e32 v55, v27, v88
	v_fma_f16 v27, v85, s24, -v136
	v_fma_f16 v88, v87, s30, v138
	v_add_f16_e32 v27, v27, v89
	v_add_f16_e32 v56, v88, v56
	s_barrier
	s_and_saveexec_b64 s[4:5], s[0:1]
	s_cbranch_execz .LBB0_17
; %bb.16:
	v_mul_f16_e32 v171, 0xbbdd, v93
	v_fma_f16 v88, v73, s37, v171
	v_mul_f16_e32 v172, 0x3b76, v95
	v_add_f16_e32 v88, v57, v88
	v_fma_f16 v89, v75, s29, v172
	v_mul_f16_e32 v173, 0xbacd, v97
	v_add_f16_e32 v88, v89, v88
	v_fma_f16 v89, v78, s33, v173
	v_mul_f16_e32 v174, 0x39e9, v99
	s_mov_b32 s31, 0xb964
	v_add_f16_e32 v88, v89, v88
	v_fma_f16 v89, v80, s31, v174
	v_mul_f16_e32 v175, 0xb8d2, v101
	v_add_f16_e32 v88, v89, v88
	v_fma_f16 v89, v82, s35, v175
	v_mul_f16_e32 v176, 0x3722, v104
	;; [unrolled: 3-line block ×14, first 2 shown]
	v_add_f16_e32 v91, v57, v91
	v_fma_f16 v189, v75, s17, v188
	s_movk_i32 s38, 0x3bf7
	v_add_f16_e32 v91, v189, v91
	v_mul_f16_e32 v189, 0x2de8, v97
	v_fma_f16 v190, v78, s38, v189
	v_add_f16_e32 v91, v190, v91
	v_mul_f16_e32 v190, 0xb8d2, v99
	v_fma_f16 v191, v80, s20, v190
	;; [unrolled: 3-line block ×5, first 2 shown]
	v_add_f16_e32 v91, v194, v91
	v_mul_f16_e32 v194, 0xb461, v112
	v_add_f16_e32 v30, v30, v29
	v_fma_f16 v195, v87, s25, v194
	v_add_f16_e32 v30, v33, v30
	v_add_f16_e32 v91, v195, v91
	v_mul_f16_e32 v195, 0xb836, v90
	v_add_f16_e32 v30, v34, v30
	v_fma_f16 v196, v72, s26, v195
	v_mul_f16_e32 v197, 0x3b29, v92
	v_add_f16_e32 v30, v31, v30
	v_add_f16_e32 v196, v29, v196
	v_fma_f16 v198, v74, s14, v197
	v_add_f16_e32 v30, v32, v30
	v_add_f16_e32 v196, v198, v196
	v_mul_f16_e32 v198, 0xbbf7, v94
	v_add_f16_e32 v30, v35, v30
	v_fma_f16 v199, v76, s15, v198
	v_add_f16_e32 v30, v36, v30
	v_add_f16_e32 v196, v199, v196
	v_mul_f16_e32 v199, 0x3a62, v96
	;; [unrolled: 5-line block ×5, first 2 shown]
	v_add_f16_e32 v25, v25, v30
	v_fma_f16 v30, v73, s21, v171
	v_fma_f16 v203, v83, s24, v202
	v_add_f16_e32 v30, v57, v30
	v_fma_f16 v31, v75, s27, v172
	v_add_f16_e32 v196, v203, v196
	v_mul_f16_e32 v203, 0xbbb2, v107
	v_add_f16_e32 v30, v31, v30
	v_fma_f16 v31, v78, s28, v173
	v_fma_f16 v204, v85, s22, v203
	v_add_f16_e32 v30, v31, v30
	v_fma_f16 v31, v80, s30, v174
	s_movk_i32 s36, 0x3b29
	v_add_f16_e32 v196, v204, v196
	v_mul_f16_e32 v204, 0xb8d2, v93
	v_add_f16_e32 v30, v31, v30
	v_fma_f16 v31, v82, s20, v175
	s_mov_b32 s34, 0xbbb2
	v_fma_f16 v205, v73, s35, v204
	v_mul_f16_e32 v206, 0xb461, v95
	v_add_f16_e32 v30, v31, v30
	v_fma_f16 v31, v84, s36, v176
	v_add_f16_e32 v205, v57, v205
	v_fma_f16 v207, v75, s34, v206
	;; [unrolled: 2-line block ×3, first 2 shown]
	v_add_f16_e32 v205, v207, v205
	v_mul_f16_e32 v207, 0x3b76, v97
	v_add_f16_e32 v30, v31, v30
	v_fma_f16 v31, v87, s38, v178
	v_fma_f16 v208, v78, s27, v207
	v_add_f16_e32 v30, v31, v30
	v_fma_f16 v31, v72, s18, -v179
	v_add_f16_e32 v205, v208, v205
	v_mul_f16_e32 v208, 0xbacd, v99
	v_add_f16_e32 v31, v29, v31
	v_fma_f16 v32, v74, s23, -v180
	v_fma_f16 v209, v80, s33, v208
	v_add_f16_e32 v31, v32, v31
	v_fma_f16 v32, v76, s26, -v181
	v_add_f16_e32 v205, v209, v205
	v_mul_f16_e32 v209, 0x2de8, v101
	v_add_f16_e32 v31, v32, v31
	v_fma_f16 v32, v77, s24, -v182
	;; [unrolled: 7-line block ×4, first 2 shown]
	v_fma_f16 v212, v86, s37, v211
	v_add_f16_e32 v31, v32, v31
	v_fma_f16 v32, v73, s28, v187
	v_add_f16_e32 v205, v212, v205
	v_mul_f16_e32 v212, 0x3722, v112
	v_add_f16_e32 v32, v57, v32
	v_fma_f16 v33, v75, s36, v188
	v_fma_f16 v213, v87, s17, v212
	v_add_f16_e32 v32, v33, v32
	v_fma_f16 v33, v78, s19, v189
	v_add_f16_e32 v205, v213, v205
	v_mul_f16_e32 v213, 0xba62, v90
	v_add_f16_e32 v32, v33, v32
	v_fma_f16 v33, v80, s35, v190
	v_fma_f16 v214, v72, s16, v213
	v_mul_f16_e32 v215, 0x3bb2, v92
	v_add_f16_e32 v32, v33, v32
	v_fma_f16 v33, v82, s29, v191
	v_add_f16_e32 v214, v29, v214
	v_fma_f16 v216, v74, s22, v215
	v_add_f16_e32 v32, v33, v32
	v_fma_f16 v33, v84, s21, v192
	v_add_f16_e32 v214, v216, v214
	v_mul_f16_e32 v216, 0xb5c8, v94
	v_add_f16_e32 v32, v33, v32
	v_fma_f16 v33, v86, s30, v193
	v_fma_f16 v217, v76, s23, v216
	v_add_f16_e32 v32, v33, v32
	v_fma_f16 v33, v87, s34, v194
	v_add_f16_e32 v214, v217, v214
	v_mul_f16_e32 v217, 0xb836, v96
	v_add_f16_e32 v32, v33, v32
	v_fma_f16 v33, v72, s26, -v195
	v_fma_f16 v218, v77, s26, v217
	v_add_f16_e32 v33, v29, v33
	v_fma_f16 v34, v74, s14, -v197
	v_add_f16_e32 v214, v218, v214
	v_mul_f16_e32 v218, 0x3bf7, v98
	v_add_f16_e32 v33, v34, v33
	v_fma_f16 v34, v76, s15, -v198
	v_fma_f16 v219, v79, s15, v218
	v_add_f16_e32 v33, v34, v33
	v_fma_f16 v34, v77, s16, -v199
	;; [unrolled: 7-line block ×4, first 2 shown]
	v_add_f16_e32 v214, v221, v214
	v_mul_f16_e32 v221, 0x3b29, v107
	v_add_f16_e32 v33, v34, v33
	v_fma_f16 v34, v73, s20, v204
	v_fma_f16 v222, v85, s14, v221
	v_add_f16_e32 v34, v57, v34
	v_fma_f16 v35, v75, s25, v206
	v_add_f16_e32 v214, v222, v214
	v_mul_f16_e32 v222, 0xb461, v93
	v_add_f16_e32 v34, v35, v34
	v_fma_f16 v35, v78, s29, v207
	v_fma_f16 v223, v73, s25, v222
	v_mul_f16_e32 v224, 0xbacd, v95
	v_add_f16_e32 v34, v35, v34
	v_fma_f16 v35, v80, s28, v208
	v_add_f16_e32 v223, v57, v223
	v_fma_f16 v225, v75, s28, v224
	;; [unrolled: 2-line block ×3, first 2 shown]
	v_add_f16_e32 v223, v225, v223
	v_mul_f16_e32 v225, 0x39e9, v97
	v_add_f16_e32 v34, v35, v34
	v_fma_f16 v35, v84, s31, v210
	v_fma_f16 v226, v78, s31, v225
	v_add_f16_e32 v34, v35, v34
	v_fma_f16 v35, v86, s21, v211
	v_add_f16_e32 v223, v226, v223
	v_mul_f16_e32 v226, 0x3722, v99
	v_add_f16_e32 v34, v35, v34
	v_fma_f16 v35, v87, s36, v212
	v_mul_f16_e32 v139, 0x3722, v72
	v_fma_f16 v227, v80, s36, v226
	v_add_f16_e32 v34, v35, v34
	v_fma_f16 v35, v72, s16, -v213
	v_mul_f16_e32 v140, 0xbb29, v73
	v_mul_f16_e32 v143, 0xb8d2, v74
	v_add_f16_e32 v223, v227, v223
	v_mul_f16_e32 v227, 0xbbdd, v101
	v_add_f16_e32 v102, v139, v102
	v_add_f16_e32 v35, v29, v35
	v_fma_f16 v36, v74, s22, -v215
	v_mul_f16_e32 v144, 0xba62, v75
	v_mul_f16_e32 v147, 0xbbdd, v76
	v_fma_f16 v228, v82, s37, v227
	v_sub_f16_e32 v105, v105, v140
	v_add_f16_e32 v102, v29, v102
	v_add_f16_e32 v106, v143, v106
	;; [unrolled: 1-line block ×3, first 2 shown]
	v_fma_f16 v36, v76, s23, -v216
	v_mul_f16_e32 v148, 0x31e1, v78
	v_mul_f16_e32 v151, 0xb461, v77
	v_add_f16_e32 v223, v228, v223
	v_mul_f16_e32 v228, 0x2de8, v104
	v_add_f16_e32 v105, v57, v105
	v_sub_f16_e32 v109, v109, v144
	v_add_f16_e32 v102, v106, v102
	v_add_f16_e32 v106, v147, v110
	;; [unrolled: 1-line block ×3, first 2 shown]
	v_fma_f16 v36, v77, s26, -v217
	v_mul_f16_e32 v152, 0x3bb2, v80
	v_mul_f16_e32 v155, 0x39e9, v79
	v_fma_f16 v229, v84, s19, v228
	v_add_f16_e32 v105, v109, v105
	v_sub_f16_e32 v109, v114, v148
	v_add_f16_e32 v102, v106, v102
	v_add_f16_e32 v106, v151, v113
	;; [unrolled: 1-line block ×3, first 2 shown]
	v_fma_f16 v36, v79, s15, -v218
	v_mul_f16_e32 v156, 0x3964, v82
	v_mul_f16_e32 v159, 0x3b76, v81
	v_add_f16_e32 v223, v229, v223
	v_mul_f16_e32 v229, 0x3b76, v108
	v_add_f16_e32 v105, v109, v105
	v_sub_f16_e32 v109, v117, v152
	v_add_f16_e32 v102, v106, v102
	v_add_f16_e32 v106, v155, v118
	;; [unrolled: 1-line block ×3, first 2 shown]
	v_fma_f16 v36, v81, s24, -v219
	v_mul_f16_e32 v141, 0x2de8, v72
	v_mul_f16_e32 v160, 0xb5c8, v84
	;; [unrolled: 1-line block ×3, first 2 shown]
	v_fma_f16 v230, v86, s27, v229
	v_add_f16_e32 v105, v109, v105
	v_sub_f16_e32 v109, v122, v156
	v_add_f16_e32 v102, v106, v102
	v_add_f16_e32 v106, v159, v121
	;; [unrolled: 1-line block ×3, first 2 shown]
	v_fma_f16 v36, v83, s18, -v220
	v_mul_f16_e32 v145, 0xbbdd, v74
	v_mul_f16_e32 v164, 0xbbf7, v86
	;; [unrolled: 1-line block ×3, first 2 shown]
	v_add_f16_e32 v223, v230, v223
	v_mul_f16_e32 v230, 0xb8d2, v112
	v_add_f16_e32 v111, v141, v111
	v_add_f16_e32 v105, v109, v105
	v_sub_f16_e32 v109, v126, v160
	v_add_f16_e32 v102, v106, v102
	v_add_f16_e32 v106, v163, v125
	;; [unrolled: 1-line block ×3, first 2 shown]
	v_fma_f16 v36, v85, s14, -v221
	v_mul_f16_e32 v149, 0xb461, v76
	v_mul_f16_e32 v168, 0xb836, v87
	v_fma_f16 v231, v87, s35, v230
	v_add_f16_e32 v111, v29, v111
	v_add_f16_e32 v116, v145, v116
	;; [unrolled: 1-line block ×3, first 2 shown]
	v_sub_f16_e32 v109, v130, v164
	v_add_f16_e32 v102, v106, v102
	v_add_f16_e32 v106, v167, v129
	;; [unrolled: 1-line block ×3, first 2 shown]
	v_fma_f16 v36, v73, s34, v222
	v_mul_f16_e32 v153, 0x3b76, v77
	v_add_f16_e32 v223, v231, v223
	v_mul_f16_e32 v231, 0xbbb2, v90
	v_add_f16_e32 v111, v116, v111
	v_add_f16_e32 v116, v149, v120
	;; [unrolled: 1-line block ×3, first 2 shown]
	v_sub_f16_e32 v109, v133, v168
	v_add_f16_e32 v102, v106, v102
	v_mul_f16_e32 v106, 0x39e9, v93
	v_add_f16_e32 v36, v57, v36
	v_fma_f16 v37, v75, s33, v224
	v_mul_f16_e32 v157, 0x3722, v79
	v_fma_f16 v232, v72, s22, v231
	v_mul_f16_e32 v233, 0x3836, v92
	v_add_f16_e32 v111, v116, v111
	v_add_f16_e32 v116, v153, v123
	;; [unrolled: 1-line block ×3, first 2 shown]
	v_fma_f16 v109, v73, s30, v106
	v_mul_f16_e32 v110, 0x2de8, v95
	v_add_f16_e32 v36, v37, v36
	v_fma_f16 v37, v78, s30, v225
	v_mul_f16_e32 v161, 0xbacd, v81
	v_add_f16_e32 v232, v29, v232
	v_fma_f16 v234, v74, s26, v233
	v_add_f16_e32 v111, v116, v111
	v_add_f16_e32 v116, v157, v127
	;; [unrolled: 1-line block ×3, first 2 shown]
	v_fma_f16 v113, v75, s38, v110
	v_add_f16_e32 v36, v37, v36
	v_fma_f16 v37, v80, s17, v226
	v_mul_f16_e32 v142, 0xbbf7, v73
	v_mul_f16_e32 v165, 0xb8d2, v83
	v_add_f16_e32 v232, v234, v232
	v_mul_f16_e32 v234, 0x3964, v94
	v_add_f16_e32 v111, v116, v111
	v_add_f16_e32 v116, v161, v132
	;; [unrolled: 1-line block ×3, first 2 shown]
	v_mul_f16_e32 v113, 0xb8d2, v97
	v_add_f16_e32 v36, v37, v36
	v_fma_f16 v37, v82, s21, v227
	v_mul_f16_e32 v146, 0xb1e1, v75
	v_mul_f16_e32 v169, 0x39e9, v85
	v_fma_f16 v235, v76, s24, v234
	v_sub_f16_e32 v115, v115, v142
	v_add_f16_e32 v111, v116, v111
	v_add_f16_e32 v116, v165, v134
	v_fma_f16 v114, v78, s35, v113
	v_add_f16_e32 v36, v37, v36
	v_fma_f16 v37, v84, s38, v228
	v_mul_f16_e32 v150, 0x3bb2, v78
	v_add_f16_e32 v232, v235, v232
	v_mul_f16_e32 v235, 0xbb29, v96
	v_add_f16_e32 v115, v57, v115
	v_sub_f16_e32 v119, v119, v146
	v_add_f16_e32 v111, v116, v111
	v_add_f16_e32 v116, v169, v136
	;; [unrolled: 1-line block ×3, first 2 shown]
	v_mul_f16_e32 v114, 0xbbdd, v99
	v_add_f16_e32 v36, v37, v36
	v_fma_f16 v37, v86, s29, v229
	v_mul_f16_e32 v154, 0x35c8, v80
	v_fma_f16 v236, v77, s14, v235
	v_add_f16_e32 v115, v119, v115
	v_sub_f16_e32 v119, v124, v150
	v_add_f16_e32 v111, v116, v111
	v_fma_f16 v116, v80, s37, v114
	v_add_f16_e32 v36, v37, v36
	v_fma_f16 v37, v87, s20, v230
	v_mul_f16_e32 v158, 0xbb29, v82
	v_add_f16_e32 v232, v236, v232
	v_mul_f16_e32 v236, 0xb1e1, v98
	v_add_f16_e32 v115, v119, v115
	v_sub_f16_e32 v119, v128, v154
	v_add_f16_e32 v109, v116, v109
	v_mul_f16_e32 v116, 0xbacd, v101
	v_add_f16_e32 v36, v37, v36
	v_fma_f16 v37, v72, s22, -v231
	v_mul_f16_e32 v162, 0xb836, v84
	v_fma_f16 v237, v79, s18, v236
	v_add_f16_e32 v115, v119, v115
	v_sub_f16_e32 v119, v131, v158
	v_fma_f16 v117, v82, s28, v116
	v_add_f16_e32 v37, v29, v37
	v_fma_f16 v38, v74, s26, -v233
	v_mul_f16_e32 v166, 0x3a62, v86
	v_add_f16_e32 v232, v237, v232
	v_mul_f16_e32 v237, 0x3bf7, v100
	v_add_f16_e32 v115, v119, v115
	v_sub_f16_e32 v119, v135, v162
	v_add_f16_e32 v109, v117, v109
	v_mul_f16_e32 v117, 0xb461, v104
	v_add_f16_e32 v37, v38, v37
	v_fma_f16 v38, v76, s24, -v234
	v_mul_f16_e32 v170, 0x3964, v87
	v_fma_f16 v238, v81, s15, v237
	v_add_f16_e32 v115, v119, v115
	v_sub_f16_e32 v119, v137, v166
	v_fma_f16 v118, v84, s34, v117
	v_add_f16_e32 v37, v38, v37
	v_fma_f16 v38, v77, s14, -v235
	v_add_f16_e32 v232, v238, v232
	v_mul_f16_e32 v238, 0xb5c8, v103
	v_add_f16_e32 v115, v119, v115
	v_sub_f16_e32 v119, v138, v170
	v_add_f16_e32 v109, v118, v109
	v_mul_f16_e32 v118, 0x3722, v108
	v_add_f16_e32 v37, v38, v37
	v_fma_f16 v38, v79, s18, -v236
	v_fma_f16 v239, v83, s23, v238
	v_add_f16_e32 v115, v119, v115
	v_fma_f16 v119, v86, s17, v118
	v_add_f16_e32 v37, v38, v37
	v_fma_f16 v38, v81, s15, -v237
	v_add_f16_e32 v232, v239, v232
	v_mul_f16_e32 v239, 0xba62, v107
	v_add_f16_e32 v109, v119, v109
	v_mul_f16_e32 v119, 0x3b76, v112
	v_add_f16_e32 v37, v38, v37
	v_fma_f16 v38, v83, s23, -v238
	v_fma_f16 v120, v87, s29, v119
	v_add_f16_e32 v37, v38, v37
	v_fma_f16 v38, v85, s16, -v239
	v_add_f16_e32 v109, v120, v109
	v_mul_f16_e32 v120, 0xb964, v90
	v_add_f16_e32 v37, v38, v37
	v_fma_f16 v38, v73, s31, v106
	v_fma_f16 v121, v72, s24, v120
	v_mul_f16_e32 v122, 0xbbf7, v92
	v_add_f16_e32 v38, v57, v38
	v_fma_f16 v39, v75, s19, v110
	v_add_f16_e32 v121, v29, v121
	v_fma_f16 v123, v74, s15, v122
	;; [unrolled: 2-line block ×3, first 2 shown]
	v_add_f16_e32 v121, v123, v121
	v_mul_f16_e32 v123, 0xba62, v94
	v_add_f16_e32 v38, v39, v38
	v_fma_f16 v39, v80, s21, v114
	v_fma_f16 v124, v76, s16, v123
	v_add_f16_e32 v38, v39, v38
	v_fma_f16 v39, v82, s33, v116
	v_add_f16_e32 v121, v124, v121
	v_mul_f16_e32 v124, 0xb1e1, v96
	v_add_f16_e32 v38, v39, v38
	v_fma_f16 v39, v84, s25, v117
	v_fma_f16 v125, v77, s18, v124
	v_add_f16_e32 v38, v39, v38
	v_fma_f16 v39, v86, s36, v118
	v_add_f16_e32 v121, v125, v121
	v_mul_f16_e32 v125, 0x3836, v98
	v_add_f16_e32 v38, v39, v38
	v_fma_f16 v39, v87, s27, v119
	v_fma_f16 v126, v79, s26, v125
	v_add_f16_e32 v38, v39, v38
	v_fma_f16 v39, v72, s24, -v120
	v_add_f16_e32 v121, v126, v121
	v_mul_f16_e32 v126, 0x3bb2, v100
	v_add_f16_e32 v39, v29, v39
	v_fma_f16 v40, v74, s15, -v122
	v_fma_f16 v127, v81, s22, v126
	v_add_f16_e32 v39, v40, v39
	v_fma_f16 v40, v76, s16, -v123
	v_add_f16_e32 v121, v127, v121
	v_mul_f16_e32 v127, 0x3b29, v103
	v_add_f16_e32 v39, v40, v39
	v_fma_f16 v40, v77, s18, -v124
	;; [unrolled: 7-line block ×3, first 2 shown]
	v_fma_f16 v129, v85, s23, v128
	v_mul_f16_e32 v93, 0x3b76, v93
	v_add_f16_e32 v39, v40, v39
	v_fma_f16 v40, v83, s14, -v127
	v_add_f16_e32 v121, v129, v121
	v_fma_f16 v129, v73, s27, v93
	v_mul_f16_e32 v95, 0x39e9, v95
	v_add_f16_e32 v39, v40, v39
	v_fma_f16 v40, v85, s23, -v128
	v_add_f16_e32 v129, v57, v129
	v_fma_f16 v130, v75, s30, v95
	v_mul_f16_e32 v97, 0x3722, v97
	v_add_f16_e32 v25, v26, v25
	v_add_f16_e32 v26, v58, v57
	;; [unrolled: 1-line block ×3, first 2 shown]
	v_fma_f16 v40, v73, s29, v93
	v_add_f16_e32 v129, v130, v129
	v_fma_f16 v130, v78, s36, v97
	v_mul_f16_e32 v99, 0x2de8, v99
	v_add_f16_e32 v26, v60, v26
	v_add_f16_e32 v40, v57, v40
	v_fma_f16 v41, v75, s31, v95
	v_add_f16_e32 v129, v130, v129
	v_fma_f16 v130, v80, s38, v99
	v_mul_f16_e32 v101, 0xb461, v101
	v_add_f16_e32 v26, v61, v26
	v_add_f16_e32 v40, v41, v40
	v_fma_f16 v41, v78, s17, v97
	v_add_f16_e32 v129, v130, v129
	v_fma_f16 v130, v82, s25, v101
	v_mul_f16_e32 v104, 0xb8d2, v104
	v_add_f16_e32 v26, v59, v26
	v_add_f16_e32 v40, v41, v40
	v_fma_f16 v41, v80, s19, v99
	v_add_f16_e32 v129, v130, v129
	v_fma_f16 v130, v84, s35, v104
	v_mul_f16_e32 v108, 0xbacd, v108
	v_add_f16_e32 v26, v62, v26
	v_add_f16_e32 v40, v41, v40
	v_fma_f16 v41, v82, s34, v101
	v_add_f16_e32 v129, v130, v129
	v_fma_f16 v130, v86, s33, v108
	v_mul_f16_e32 v112, 0xbbdd, v112
	v_add_f16_e32 v26, v63, v26
	v_add_f16_e32 v40, v41, v40
	v_fma_f16 v41, v84, s20, v104
	v_add_f16_e32 v129, v130, v129
	v_fma_f16 v130, v87, s37, v112
	v_mul_f16_e32 v90, 0xb5c8, v90
	v_add_f16_e32 v26, v65, v26
	v_add_f16_e32 v40, v41, v40
	v_fma_f16 v41, v86, s28, v108
	v_add_f16_e32 v129, v130, v129
	v_fma_f16 v130, v72, s23, v90
	v_mul_f16_e32 v92, 0xb964, v92
	v_add_f16_e32 v26, v66, v26
	v_add_f16_e32 v40, v41, v40
	v_fma_f16 v41, v87, s21, v112
	v_add_f16_e32 v130, v29, v130
	v_fma_f16 v131, v74, s24, v92
	v_mul_f16_e32 v94, 0xbb29, v94
	v_add_f16_e32 v26, v64, v26
	v_add_f16_e32 v40, v41, v40
	v_fma_f16 v41, v72, s23, -v90
	v_add_f16_e32 v130, v131, v130
	v_fma_f16 v131, v76, s14, v94
	v_mul_f16_e32 v96, 0xbbf7, v96
	v_add_f16_e32 v26, v67, v26
	v_add_f16_e32 v29, v29, v41
	v_fma_f16 v41, v74, s24, -v92
	v_add_f16_e32 v130, v131, v130
	v_fma_f16 v131, v77, s15, v96
	v_mul_f16_e32 v98, 0xbbb2, v98
	v_add_f16_e32 v26, v68, v26
	v_add_f16_e32 v29, v41, v29
	;; [unrolled: 6-line block ×5, first 2 shown]
	v_fma_f16 v41, v81, s16, -v100
	v_add_f16_e32 v130, v131, v130
	v_fma_f16 v131, v85, s18, v107
	v_add_f16_e32 v26, v49, v26
	v_add_f16_e32 v29, v41, v29
	v_fma_f16 v41, v83, s26, -v103
	v_add_f16_e32 v130, v131, v130
	v_add_f16_e32 v25, v48, v25
	;; [unrolled: 1-line block ×4, first 2 shown]
	v_fma_f16 v41, v85, s18, -v107
	v_fma_f16 v240, v85, s16, v239
	v_add_f16_e32 v29, v41, v29
	v_lshl_add_u32 v41, v47, 2, v46
	v_pack_b32_f16 v42, v130, v129
	v_pack_b32_f16 v25, v25, v26
	v_add_f16_e32 v232, v240, v232
	ds_write2_b32 v41, v25, v42 offset1:1
	v_pack_b32_f16 v25, v102, v105
	v_pack_b32_f16 v26, v121, v109
	ds_write2_b32 v41, v26, v25 offset0:2 offset1:3
	v_pack_b32_f16 v25, v111, v115
	v_pack_b32_f16 v26, v232, v223
	ds_write2_b32 v41, v25, v26 offset0:4 offset1:5
	;; [unrolled: 3-line block ×4, first 2 shown]
	v_pack_b32_f16 v25, v35, v34
	v_pack_b32_f16 v26, v33, v32
	s_mov_b32 s14, 0x5040100
	ds_write2_b32 v41, v26, v25 offset0:10 offset1:11
	v_pack_b32_f16 v25, v37, v36
	v_perm_b32 v26, v56, v27, s14
	ds_write2_b32 v41, v25, v26 offset0:12 offset1:13
	v_pack_b32_f16 v25, v39, v38
	v_perm_b32 v26, v55, v54, s14
	ds_write2_b32 v41, v26, v25 offset0:14 offset1:15
	v_pack_b32_f16 v25, v29, v40
	ds_write_b32 v41, v25 offset:64
.LBB0_17:
	s_or_b64 exec, exec, s[4:5]
	s_waitcnt lgkmcnt(0)
	s_barrier
	ds_read2_b32 v[31:32], v51 offset1:85
	ds_read2_b32 v[33:34], v51 offset0:170 offset1:255
	v_add_u32_e32 v25, 0x400, v51
	ds_read2_b32 v[35:36], v25 offset0:84 offset1:169
	v_add_u32_e32 v25, 0x600, v51
	s_waitcnt lgkmcnt(2)
	v_lshrrev_b32_e32 v26, 16, v32
	ds_read2_b32 v[37:38], v25 offset0:126 offset1:211
	v_mul_f16_sdwa v64, v4, v26 dst_sel:DWORD dst_unused:UNUSED_PAD src0_sel:WORD_1 src1_sel:DWORD
	s_waitcnt lgkmcnt(2)
	v_lshrrev_b32_e32 v46, 16, v33
	v_add_u32_e32 v29, 0x800, v51
	v_fma_f16 v64, v4, v32, v64
	v_mul_f16_sdwa v32, v4, v32 dst_sel:DWORD dst_unused:UNUSED_PAD src0_sel:WORD_1 src1_sel:DWORD
	v_lshrrev_b32_e32 v47, 16, v34
	ds_read2_b32 v[39:40], v29 offset0:168 offset1:253
	v_fma_f16 v4, v4, v26, -v32
	v_mul_f16_sdwa v26, v5, v46 dst_sel:DWORD dst_unused:UNUSED_PAD src0_sel:WORD_1 src1_sel:DWORD
	v_mul_f16_sdwa v32, v5, v33 dst_sel:DWORD dst_unused:UNUSED_PAD src0_sel:WORD_1 src1_sel:DWORD
	s_waitcnt lgkmcnt(2)
	v_lshrrev_b32_e32 v48, 16, v35
	v_add_u32_e32 v30, 0xc00, v51
	v_fma_f16 v26, v5, v33, v26
	v_fma_f16 v5, v5, v46, -v32
	v_mul_f16_sdwa v32, v6, v47 dst_sel:DWORD dst_unused:UNUSED_PAD src0_sel:WORD_1 src1_sel:DWORD
	v_mul_f16_sdwa v33, v6, v34 dst_sel:DWORD dst_unused:UNUSED_PAD src0_sel:WORD_1 src1_sel:DWORD
	v_lshrrev_b32_e32 v49, 16, v36
	ds_read2_b32 v[41:42], v30 offset0:82 offset1:167
	v_fma_f16 v32, v6, v34, v32
	v_fma_f16 v6, v6, v47, -v33
	v_mul_f16_sdwa v33, v7, v48 dst_sel:DWORD dst_unused:UNUSED_PAD src0_sel:WORD_1 src1_sel:DWORD
	v_mul_f16_sdwa v34, v7, v35 dst_sel:DWORD dst_unused:UNUSED_PAD src0_sel:WORD_1 src1_sel:DWORD
	s_waitcnt lgkmcnt(2)
	v_lshrrev_b32_e32 v50, 16, v37
	v_fma_f16 v33, v7, v35, v33
	v_fma_f16 v7, v7, v48, -v34
	v_mul_f16_sdwa v34, v8, v49 dst_sel:DWORD dst_unused:UNUSED_PAD src0_sel:WORD_1 src1_sel:DWORD
	v_mul_f16_sdwa v35, v8, v36 dst_sel:DWORD dst_unused:UNUSED_PAD src0_sel:WORD_1 src1_sel:DWORD
	v_lshrrev_b32_e32 v57, 16, v38
	ds_read_b32 v58, v51 offset:4080
	v_fma_f16 v34, v8, v36, v34
	v_fma_f16 v8, v8, v49, -v35
	v_mul_f16_sdwa v35, v9, v50 dst_sel:DWORD dst_unused:UNUSED_PAD src0_sel:WORD_1 src1_sel:DWORD
	v_mul_f16_sdwa v36, v9, v37 dst_sel:DWORD dst_unused:UNUSED_PAD src0_sel:WORD_1 src1_sel:DWORD
	s_waitcnt lgkmcnt(2)
	v_lshrrev_b32_e32 v59, 16, v39
	v_fma_f16 v35, v9, v37, v35
	v_fma_f16 v9, v9, v50, -v36
	v_mul_f16_sdwa v36, v10, v57 dst_sel:DWORD dst_unused:UNUSED_PAD src0_sel:WORD_1 src1_sel:DWORD
	v_mul_f16_sdwa v37, v10, v38 dst_sel:DWORD dst_unused:UNUSED_PAD src0_sel:WORD_1 src1_sel:DWORD
	v_lshrrev_b32_e32 v60, 16, v40
	v_fma_f16 v36, v10, v38, v36
	v_fma_f16 v10, v10, v57, -v37
	v_mul_f16_sdwa v37, v11, v59 dst_sel:DWORD dst_unused:UNUSED_PAD src0_sel:WORD_1 src1_sel:DWORD
	v_mul_f16_sdwa v38, v11, v39 dst_sel:DWORD dst_unused:UNUSED_PAD src0_sel:WORD_1 src1_sel:DWORD
	s_waitcnt lgkmcnt(1)
	v_lshrrev_b32_e32 v61, 16, v41
	v_fma_f16 v37, v11, v39, v37
	v_fma_f16 v11, v11, v59, -v38
	v_mul_f16_sdwa v38, v12, v60 dst_sel:DWORD dst_unused:UNUSED_PAD src0_sel:WORD_1 src1_sel:DWORD
	v_mul_f16_sdwa v39, v12, v40 dst_sel:DWORD dst_unused:UNUSED_PAD src0_sel:WORD_1 src1_sel:DWORD
	v_lshrrev_b32_e32 v62, 16, v42
	v_fma_f16 v38, v12, v40, v38
	v_fma_f16 v12, v12, v60, -v39
	v_mul_f16_sdwa v39, v13, v61 dst_sel:DWORD dst_unused:UNUSED_PAD src0_sel:WORD_1 src1_sel:DWORD
	v_mul_f16_sdwa v40, v13, v41 dst_sel:DWORD dst_unused:UNUSED_PAD src0_sel:WORD_1 src1_sel:DWORD
	s_waitcnt lgkmcnt(0)
	v_lshrrev_b32_e32 v63, 16, v58
	v_fma_f16 v39, v13, v41, v39
	v_fma_f16 v13, v13, v61, -v40
	v_mul_f16_sdwa v40, v14, v62 dst_sel:DWORD dst_unused:UNUSED_PAD src0_sel:WORD_1 src1_sel:DWORD
	v_mul_f16_sdwa v41, v14, v42 dst_sel:DWORD dst_unused:UNUSED_PAD src0_sel:WORD_1 src1_sel:DWORD
	v_fma_f16 v40, v14, v42, v40
	v_fma_f16 v14, v14, v62, -v41
	v_mul_f16_sdwa v41, v15, v63 dst_sel:DWORD dst_unused:UNUSED_PAD src0_sel:WORD_1 src1_sel:DWORD
	v_mul_f16_sdwa v42, v15, v58 dst_sel:DWORD dst_unused:UNUSED_PAD src0_sel:WORD_1 src1_sel:DWORD
	v_fma_f16 v41, v15, v58, v41
	v_fma_f16 v15, v15, v63, -v42
	v_add_f16_e32 v42, v31, v64
	v_add_f16_sdwa v46, v31, v4 dst_sel:DWORD dst_unused:UNUSED_PAD src0_sel:WORD_1 src1_sel:DWORD
	v_add_f16_e32 v42, v42, v26
	v_add_f16_e32 v46, v46, v5
	;; [unrolled: 1-line block ×21, first 2 shown]
	v_sub_f16_e32 v4, v4, v15
	v_add_f16_e32 v42, v42, v41
	v_add_f16_e32 v46, v46, v15
	;; [unrolled: 1-line block ×3, first 2 shown]
	v_sub_f16_e32 v41, v64, v41
	s_mov_b32 s18, 0xb770
	v_mul_f16_e32 v15, 0xb770, v4
	s_movk_i32 s19, 0x3b15
	v_mul_f16_e32 v50, 0x3b15, v48
	s_movk_i32 s20, 0x3770
	s_mov_b32 s15, 0xba95
	v_mul_f16_e32 v58, 0xba95, v4
	s_movk_i32 s16, 0x388b
	v_mul_f16_e32 v60, 0x388b, v48
	s_movk_i32 s17, 0x3a95
	;; [unrolled: 5-line block ×3, first 2 shown]
	s_mov_b32 s21, 0xbb7b
	v_mul_f16_e32 v66, 0xbb7b, v4
	s_mov_b32 s22, 0xb5ac
	v_mul_f16_e32 v68, 0xb5ac, v48
	s_movk_i32 s23, 0x3b7b
	s_mov_b32 s24, 0xb94e
	v_mul_f16_e32 v70, 0xb94e, v4
	s_mov_b32 s25, 0xb9fd
	v_mul_f16_e32 v72, 0xb9fd, v48
	s_movk_i32 s26, 0x394e
	;; [unrolled: 5-line block ×3, first 2 shown]
	v_fma_f16 v49, v47, s19, v15
	v_fma_f16 v57, v41, s20, v50
	v_fma_f16 v15, v47, s19, -v15
	v_fma_f16 v50, v41, s18, v50
	v_fma_f16 v59, v47, s16, v58
	v_fma_f16 v61, v41, s17, v60
	v_fma_f16 v58, v47, s16, -v58
	v_fma_f16 v60, v41, s15, v60
	;; [unrolled: 4-line block ×6, first 2 shown]
	v_add_f16_e32 v47, v5, v14
	v_sub_f16_e32 v5, v5, v14
	v_add_f16_e32 v49, v31, v49
	v_add_f16_sdwa v57, v31, v57 dst_sel:DWORD dst_unused:UNUSED_PAD src0_sel:WORD_1 src1_sel:DWORD
	v_add_f16_e32 v15, v31, v15
	v_add_f16_sdwa v50, v31, v50 dst_sel:DWORD dst_unused:UNUSED_PAD src0_sel:WORD_1 src1_sel:DWORD
	;; [unrolled: 2-line block ×12, first 2 shown]
	v_add_f16_e32 v41, v26, v40
	v_mul_f16_e32 v14, 0xba95, v5
	v_sub_f16_e32 v26, v26, v40
	v_fma_f16 v40, v41, s16, v14
	v_mul_f16_e32 v48, 0x388b, v47
	v_fma_f16 v14, v41, s16, -v14
	v_add_f16_e32 v40, v40, v49
	v_fma_f16 v49, v26, s17, v48
	v_add_f16_e32 v14, v14, v15
	v_fma_f16 v15, v26, s15, v48
	v_mul_f16_e32 v48, 0xbb7b, v5
	v_add_f16_e32 v49, v49, v57
	v_add_f16_e32 v15, v15, v50
	v_fma_f16 v50, v41, s22, v48
	v_mul_f16_e32 v57, 0xb5ac, v47
	v_fma_f16 v48, v41, s22, -v48
	v_add_f16_e32 v50, v50, v59
	v_fma_f16 v59, v26, s23, v57
	v_add_f16_e32 v48, v48, v58
	v_fma_f16 v57, v26, s21, v57
	v_mul_f16_e32 v58, 0xb3a8, v5
	v_add_f16_e32 v59, v59, v61
	v_add_f16_e32 v57, v57, v60
	;; [unrolled: 10-line block ×3, first 2 shown]
	v_fma_f16 v64, v41, s25, v62
	v_mul_f16_e32 v65, 0xb9fd, v47
	v_fma_f16 v62, v41, s25, -v62
	v_add_f16_e32 v64, v64, v67
	v_fma_f16 v67, v26, s24, v65
	v_add_f16_e32 v62, v62, v66
	v_fma_f16 v65, v26, s26, v65
	v_mul_f16_e32 v66, 0x3bf1, v5
	v_add_f16_e32 v65, v65, v68
	v_fma_f16 v68, v41, s5, v66
	v_fma_f16 v66, v41, s5, -v66
	v_mul_f16_e32 v5, 0x3770, v5
	v_add_f16_e32 v67, v67, v69
	v_mul_f16_e32 v69, 0x2fb7, v47
	v_add_f16_e32 v66, v66, v70
	v_fma_f16 v70, v41, s19, v5
	v_mul_f16_e32 v47, 0x3b15, v47
	v_fma_f16 v5, v41, s19, -v5
	v_add_f16_e32 v4, v5, v4
	v_fma_f16 v5, v26, s20, v47
	v_add_f16_e32 v68, v68, v71
	v_fma_f16 v71, v26, s4, v69
	v_fma_f16 v69, v26, s14, v69
	v_add_f16_e32 v5, v5, v31
	v_add_f16_e32 v31, v6, v13
	v_sub_f16_e32 v6, v6, v13
	v_add_f16_e32 v69, v69, v72
	v_fma_f16 v72, v26, s18, v47
	v_add_f16_e32 v26, v32, v39
	v_mul_f16_e32 v13, 0xbbf1, v6
	v_sub_f16_e32 v32, v32, v39
	v_fma_f16 v39, v26, s5, v13
	v_add_f16_e32 v39, v39, v40
	v_mul_f16_e32 v40, 0x2fb7, v31
	v_fma_f16 v13, v26, s5, -v13
	v_add_f16_e32 v13, v13, v14
	v_fma_f16 v14, v32, s4, v40
	v_add_f16_e32 v14, v14, v15
	v_mul_f16_e32 v15, 0xb3a8, v6
	v_fma_f16 v41, v32, s14, v40
	v_fma_f16 v40, v26, s28, v15
	v_fma_f16 v15, v26, s28, -v15
	v_mul_f16_e32 v47, 0xbbc4, v31
	v_add_f16_e32 v15, v15, v48
	v_mul_f16_e32 v48, 0x3b7b, v6
	v_add_f16_e32 v41, v41, v49
	v_add_f16_e32 v40, v40, v50
	v_fma_f16 v49, v32, s29, v47
	v_fma_f16 v47, v32, s27, v47
	;; [unrolled: 1-line block ×3, first 2 shown]
	v_fma_f16 v48, v26, s22, -v48
	v_add_f16_e32 v47, v47, v57
	v_mul_f16_e32 v57, 0xb5ac, v31
	v_add_f16_e32 v48, v48, v58
	v_mul_f16_e32 v58, 0x3770, v6
	v_add_f16_e32 v49, v49, v59
	v_add_f16_e32 v50, v50, v60
	v_fma_f16 v59, v32, s21, v57
	v_fma_f16 v57, v32, s23, v57
	;; [unrolled: 1-line block ×3, first 2 shown]
	v_fma_f16 v58, v26, s19, -v58
	v_add_f16_e32 v57, v57, v61
	v_mul_f16_e32 v61, 0x3b15, v31
	v_add_f16_e32 v58, v58, v62
	v_mul_f16_e32 v62, 0xba95, v6
	v_add_f16_e32 v59, v59, v63
	v_add_f16_e32 v60, v60, v64
	v_fma_f16 v63, v32, s18, v61
	v_fma_f16 v61, v32, s20, v61
	;; [unrolled: 1-line block ×3, first 2 shown]
	v_fma_f16 v62, v26, s16, -v62
	v_mul_f16_e32 v6, 0xb94e, v6
	v_add_f16_e32 v61, v61, v65
	v_mul_f16_e32 v65, 0x388b, v31
	v_add_f16_e32 v62, v62, v66
	v_fma_f16 v66, v26, s25, v6
	v_mul_f16_e32 v31, 0xb9fd, v31
	v_fma_f16 v6, v26, s25, -v6
	v_add_f16_e32 v4, v6, v4
	v_fma_f16 v6, v32, s24, v31
	v_add_f16_e32 v26, v7, v12
	v_sub_f16_e32 v7, v7, v12
	v_add_f16_e32 v5, v6, v5
	v_add_f16_e32 v6, v33, v38
	v_mul_f16_e32 v12, 0xbb7b, v7
	v_add_f16_e32 v63, v63, v67
	v_add_f16_e32 v64, v64, v68
	v_fma_f16 v67, v32, s17, v65
	v_fma_f16 v65, v32, s15, v65
	;; [unrolled: 1-line block ×3, first 2 shown]
	v_sub_f16_e32 v31, v33, v38
	v_fma_f16 v32, v6, s22, v12
	v_mul_f16_e32 v33, 0xb5ac, v26
	v_fma_f16 v12, v6, s22, -v12
	v_add_f16_e32 v12, v12, v13
	v_fma_f16 v13, v31, s21, v33
	v_add_f16_e32 v13, v13, v14
	v_mul_f16_e32 v14, 0x394e, v7
	v_add_f16_e32 v32, v32, v39
	v_fma_f16 v38, v31, s23, v33
	v_fma_f16 v33, v6, s25, v14
	v_mul_f16_e32 v39, 0xb9fd, v26
	v_fma_f16 v14, v6, s25, -v14
	v_add_f16_e32 v33, v33, v40
	v_fma_f16 v40, v31, s24, v39
	v_add_f16_e32 v14, v14, v15
	v_fma_f16 v15, v31, s26, v39
	v_mul_f16_e32 v39, 0x3770, v7
	v_add_f16_e32 v38, v38, v41
	v_fma_f16 v41, v6, s19, v39
	v_fma_f16 v39, v6, s19, -v39
	v_add_f16_e32 v15, v15, v47
	v_mul_f16_e32 v47, 0x3b15, v26
	v_add_f16_e32 v39, v39, v48
	v_mul_f16_e32 v48, 0xbbf1, v7
	v_add_f16_e32 v40, v40, v49
	v_add_f16_e32 v41, v41, v50
	v_fma_f16 v49, v31, s18, v47
	v_fma_f16 v47, v31, s20, v47
	;; [unrolled: 1-line block ×3, first 2 shown]
	v_fma_f16 v48, v6, s5, -v48
	v_add_f16_e32 v47, v47, v57
	v_mul_f16_e32 v57, 0x2fb7, v26
	v_add_f16_e32 v48, v48, v58
	v_mul_f16_e32 v58, 0x33a8, v7
	v_add_f16_e32 v49, v49, v59
	v_add_f16_e32 v50, v50, v60
	v_fma_f16 v59, v31, s14, v57
	v_fma_f16 v57, v31, s4, v57
	;; [unrolled: 1-line block ×3, first 2 shown]
	v_fma_f16 v58, v6, s28, -v58
	v_mul_f16_e32 v7, 0x3a95, v7
	v_add_f16_e32 v57, v57, v61
	v_mul_f16_e32 v61, 0xbbc4, v26
	v_add_f16_e32 v58, v58, v62
	v_fma_f16 v62, v6, s16, v7
	v_mul_f16_e32 v26, 0x388b, v26
	v_fma_f16 v6, v6, s16, -v7
	v_add_f16_e32 v4, v6, v4
	v_fma_f16 v6, v31, s17, v26
	v_add_f16_e32 v7, v8, v11
	v_sub_f16_e32 v8, v8, v11
	v_add_f16_e32 v5, v6, v5
	v_add_f16_e32 v6, v34, v37
	v_mul_f16_e32 v11, 0xb94e, v8
	v_add_f16_e32 v59, v59, v63
	v_add_f16_e32 v60, v60, v64
	v_fma_f16 v63, v31, s27, v61
	v_fma_f16 v61, v31, s29, v61
	;; [unrolled: 1-line block ×4, first 2 shown]
	v_sub_f16_e32 v26, v34, v37
	v_add_f16_e32 v31, v31, v32
	v_mul_f16_e32 v32, 0xb9fd, v7
	v_fma_f16 v11, v6, s25, -v11
	v_add_f16_e32 v11, v11, v12
	v_fma_f16 v12, v26, s24, v32
	v_add_f16_e32 v12, v12, v13
	v_mul_f16_e32 v13, 0x3bf1, v8
	v_fma_f16 v34, v26, s26, v32
	v_fma_f16 v32, v6, s5, v13
	v_add_f16_e32 v33, v32, v33
	v_mul_f16_e32 v32, 0x2fb7, v7
	v_fma_f16 v13, v6, s5, -v13
	v_add_f16_e32 v13, v13, v14
	v_fma_f16 v14, v26, s14, v32
	v_add_f16_e32 v14, v14, v15
	v_mul_f16_e32 v15, 0xba95, v8
	v_fma_f16 v37, v26, s4, v32
	v_fma_f16 v32, v6, s16, v15
	v_add_f16_e32 v34, v34, v38
	v_add_f16_e32 v38, v32, v41
	v_mul_f16_e32 v32, 0x388b, v7
	v_add_f16_e32 v37, v37, v40
	v_fma_f16 v40, v26, s17, v32
	v_fma_f16 v15, v6, s16, -v15
	v_fma_f16 v32, v26, s15, v32
	v_add_f16_e32 v15, v15, v39
	v_add_f16_e32 v39, v32, v47
	v_mul_f16_e32 v32, 0x33a8, v8
	v_fma_f16 v41, v6, s28, v32
	v_mul_f16_e32 v47, 0xbbc4, v7
	v_fma_f16 v32, v6, s28, -v32
	v_add_f16_e32 v48, v32, v48
	v_fma_f16 v32, v26, s29, v47
	v_add_f16_e32 v40, v40, v49
	v_fma_f16 v49, v26, s27, v47
	v_add_f16_e32 v47, v32, v57
	v_mul_f16_e32 v32, 0x3770, v8
	v_add_f16_e32 v70, v70, v74
	v_add_f16_e32 v65, v65, v69
	;; [unrolled: 1-line block ×3, first 2 shown]
	v_fma_f16 v50, v6, s19, v32
	v_mul_f16_e32 v57, 0x3b15, v7
	v_fma_f16 v32, v6, s19, -v32
	v_add_f16_e32 v66, v66, v70
	v_add_f16_e32 v61, v61, v65
	;; [unrolled: 1-line block ×3, first 2 shown]
	v_fma_f16 v32, v26, s20, v57
	v_mul_f16_e32 v8, 0xbb7b, v8
	v_add_f16_e32 v62, v62, v66
	v_add_f16_e32 v49, v49, v59
	v_fma_f16 v59, v26, s18, v57
	v_add_f16_e32 v57, v32, v61
	v_fma_f16 v32, v6, s22, v8
	v_mul_f16_e32 v7, 0xb5ac, v7
	v_fma_f16 v6, v6, s22, -v8
	v_add_f16_e32 v50, v50, v60
	v_add_f16_e32 v60, v32, v62
	;; [unrolled: 1-line block ×3, first 2 shown]
	v_fma_f16 v4, v26, s21, v7
	v_add_f16_e32 v62, v9, v10
	v_sub_f16_e32 v9, v9, v10
	v_fma_f16 v32, v26, s23, v7
	v_add_f16_e32 v7, v4, v5
	v_add_f16_e32 v8, v35, v36
	v_mul_f16_e32 v4, 0xb3a8, v9
	v_fma_f16 v5, v8, s28, v4
	v_add_f16_e32 v72, v72, v75
	v_sub_f16_e32 v35, v35, v36
	v_add_f16_e32 v10, v5, v31
	v_mul_f16_e32 v5, 0xbbc4, v62
	v_add_f16_e32 v68, v68, v72
	v_fma_f16 v26, v35, s29, v5
	v_fma_f16 v4, v8, s28, -v4
	v_add_f16_e32 v64, v64, v68
	v_add_f16_e32 v34, v26, v34
	;; [unrolled: 1-line block ×3, first 2 shown]
	v_fma_f16 v4, v35, s27, v5
	v_add_f16_e32 v61, v32, v64
	v_add_f16_e32 v32, v4, v12
	v_mul_f16_e32 v4, 0x3770, v9
	v_fma_f16 v5, v8, s19, v4
	v_mul_f16_e32 v12, 0x3b15, v62
	v_add_f16_e32 v11, v5, v33
	v_fma_f16 v5, v35, s18, v12
	v_fma_f16 v4, v8, s19, -v4
	v_add_f16_e32 v36, v5, v37
	v_add_f16_e32 v5, v4, v13
	v_fma_f16 v4, v35, s20, v12
	v_mul_f16_e32 v13, 0xb9fd, v62
	v_add_f16_e32 v33, v4, v14
	v_mul_f16_e32 v4, 0xb94e, v9
	v_fma_f16 v14, v35, s26, v13
	v_fma_f16 v13, v35, s24, v13
	v_fma_f16 v12, v8, s25, v4
	v_fma_f16 v4, v8, s25, -v4
	v_add_f16_e32 v31, v13, v39
	v_mul_f16_e32 v13, 0x3a95, v9
	v_mul_f16_e32 v37, 0x388b, v62
	v_add_f16_e32 v71, v71, v73
	v_add_f16_e32 v12, v12, v38
	;; [unrolled: 1-line block ×3, first 2 shown]
	v_fma_f16 v15, v8, s16, v13
	v_fma_f16 v38, v35, s15, v37
	v_fma_f16 v13, v8, s16, -v13
	v_mul_f16_e32 v39, 0xbb7b, v9
	v_mul_f16_e32 v9, 0x3bf1, v9
	v_add_f16_e32 v67, v67, v71
	v_add_f16_e32 v14, v14, v40
	;; [unrolled: 1-line block ×4, first 2 shown]
	v_fma_f16 v40, v8, s22, v39
	v_fma_f16 v39, v8, s22, -v39
	v_fma_f16 v48, v8, s5, v9
	v_mul_f16_e32 v49, 0x2fb7, v62
	v_fma_f16 v8, v8, s5, -v9
	v_add_f16_e32 v63, v63, v67
	v_add_f16_e32 v15, v15, v41
	v_fma_f16 v37, v35, s17, v37
	v_mul_f16_e32 v41, 0xb5ac, v62
	v_add_f16_e32 v6, v8, v6
	v_fma_f16 v8, v35, s14, v49
	v_add_f16_e32 v59, v59, v63
	v_add_f16_e32 v37, v37, v47
	v_fma_f16 v47, v35, s23, v41
	v_add_f16_e32 v7, v8, v7
	v_pack_b32_f16 v8, v42, v46
	v_pack_b32_f16 v9, v10, v34
	v_add_f16_e32 v40, v40, v50
	v_add_f16_e32 v47, v47, v59
	v_fma_f16 v50, v35, s4, v49
	s_barrier
	ds_write2_b32 v52, v8, v9 offset1:17
	v_pack_b32_f16 v8, v11, v36
	v_pack_b32_f16 v9, v12, v14
	v_fma_f16 v41, v35, s21, v41
	v_add_f16_e32 v48, v48, v60
	v_add_f16_e32 v50, v50, v61
	ds_write2_b32 v52, v8, v9 offset0:34 offset1:51
	v_pack_b32_f16 v8, v15, v38
	v_pack_b32_f16 v9, v40, v47
	v_add_f16_e32 v39, v39, v58
	v_add_f16_e32 v41, v41, v57
	ds_write2_b32 v52, v8, v9 offset0:68 offset1:85
	v_pack_b32_f16 v8, v48, v50
	v_pack_b32_f16 v6, v6, v7
	ds_write2_b32 v52, v8, v6 offset0:102 offset1:119
	v_pack_b32_f16 v6, v39, v41
	v_pack_b32_f16 v7, v13, v37
	;; [unrolled: 3-line block ×3, first 2 shown]
	ds_write2_b32 v52, v6, v7 offset0:170 offset1:187
	v_pack_b32_f16 v6, v26, v32
	v_add_u32_e32 v8, 0x200, v51
	ds_write_b32 v52, v6 offset:816
	s_waitcnt lgkmcnt(0)
	s_barrier
	ds_read2_b32 v[6:7], v51 offset1:85
	ds_read2_b32 v[14:15], v8 offset0:93 offset1:178
	ds_read2_b32 v[12:13], v25 offset0:58 offset1:143
	;; [unrolled: 1-line block ×4, first 2 shown]
	v_add_u32_e32 v25, 0x154, v53
	s_and_saveexec_b64 s[4:5], s[2:3]
	s_cbranch_execz .LBB0_19
; %bb.18:
	v_add_u32_e32 v4, 0x280, v51
	v_add_u32_e32 v26, 0x980, v51
	ds_read2_b32 v[4:5], v4 offset0:10 offset1:231
	ds_read2_b32 v[26:27], v26 offset0:4 offset1:225
	ds_read_b32 v54, v51 offset:4216
	s_waitcnt lgkmcnt(1)
	v_lshrrev_b32_e32 v32, 16, v26
	v_lshrrev_b32_e32 v31, 16, v4
	;; [unrolled: 1-line block ×4, first 2 shown]
	s_waitcnt lgkmcnt(0)
	v_lshrrev_b32_e32 v55, 16, v54
.LBB0_19:
	s_or_b64 exec, exec, s[4:5]
	s_waitcnt lgkmcnt(3)
	v_lshrrev_b32_e32 v30, 16, v14
	v_mul_f16_sdwa v42, v16, v30 dst_sel:DWORD dst_unused:UNUSED_PAD src0_sel:WORD_1 src1_sel:DWORD
	s_waitcnt lgkmcnt(2)
	v_lshrrev_b32_e32 v34, 16, v12
	v_fma_f16 v42, v16, v14, v42
	v_mul_f16_sdwa v14, v16, v14 dst_sel:DWORD dst_unused:UNUSED_PAD src0_sel:WORD_1 src1_sel:DWORD
	v_fma_f16 v14, v16, v30, -v14
	v_mul_f16_sdwa v16, v17, v34 dst_sel:DWORD dst_unused:UNUSED_PAD src0_sel:WORD_1 src1_sel:DWORD
	s_waitcnt lgkmcnt(1)
	v_lshrrev_b32_e32 v35, 16, v10
	v_fma_f16 v16, v17, v12, v16
	v_mul_f16_sdwa v12, v17, v12 dst_sel:DWORD dst_unused:UNUSED_PAD src0_sel:WORD_1 src1_sel:DWORD
	v_fma_f16 v12, v17, v34, -v12
	;; [unrolled: 6-line block ×3, first 2 shown]
	v_mul_f16_sdwa v18, v19, v36 dst_sel:DWORD dst_unused:UNUSED_PAD src0_sel:WORD_1 src1_sel:DWORD
	v_lshrrev_b32_e32 v38, 16, v15
	v_fma_f16 v18, v19, v8, v18
	v_mul_f16_sdwa v8, v19, v8 dst_sel:DWORD dst_unused:UNUSED_PAD src0_sel:WORD_1 src1_sel:DWORD
	v_fma_f16 v8, v19, v36, -v8
	v_mul_f16_sdwa v19, v20, v38 dst_sel:DWORD dst_unused:UNUSED_PAD src0_sel:WORD_1 src1_sel:DWORD
	v_lshrrev_b32_e32 v39, 16, v13
	v_fma_f16 v19, v20, v15, v19
	v_mul_f16_sdwa v15, v20, v15 dst_sel:DWORD dst_unused:UNUSED_PAD src0_sel:WORD_1 src1_sel:DWORD
	v_fma_f16 v15, v20, v38, -v15
	;; [unrolled: 5-line block ×3, first 2 shown]
	v_mul_f16_sdwa v21, v22, v40 dst_sel:DWORD dst_unused:UNUSED_PAD src0_sel:WORD_1 src1_sel:DWORD
	v_add_f16_e32 v30, v16, v17
	v_lshrrev_b32_e32 v41, 16, v9
	v_fma_f16 v21, v22, v11, v21
	v_mul_f16_sdwa v11, v22, v11 dst_sel:DWORD dst_unused:UNUSED_PAD src0_sel:WORD_1 src1_sel:DWORD
	v_fma_f16 v30, v30, -0.5, v6
	v_sub_f16_e32 v34, v14, v8
	s_mov_b32 s14, 0xbb9c
	s_movk_i32 s17, 0x3b9c
	v_fma_f16 v11, v22, v40, -v11
	v_mul_f16_sdwa v22, v23, v41 dst_sel:DWORD dst_unused:UNUSED_PAD src0_sel:WORD_1 src1_sel:DWORD
	v_fma_f16 v35, v34, s14, v30
	v_sub_f16_e32 v36, v12, v10
	s_mov_b32 s15, 0xb8b4
	v_sub_f16_e32 v38, v42, v16
	v_sub_f16_e32 v39, v18, v17
	v_fma_f16 v30, v34, s17, v30
	s_movk_i32 s18, 0x38b4
	v_fma_f16 v22, v23, v9, v22
	v_mul_f16_sdwa v9, v23, v9 dst_sel:DWORD dst_unused:UNUSED_PAD src0_sel:WORD_1 src1_sel:DWORD
	v_fma_f16 v35, v36, s15, v35
	v_add_f16_e32 v38, v38, v39
	s_movk_i32 s16, 0x34f2
	v_fma_f16 v30, v36, s18, v30
	v_fma_f16 v9, v23, v41, -v9
	v_add_f16_e32 v23, v6, v42
	v_fma_f16 v35, v38, s16, v35
	v_fma_f16 v30, v38, s16, v30
	v_add_f16_e32 v38, v42, v18
	v_lshrrev_b32_e32 v29, 16, v6
	v_add_f16_e32 v23, v23, v16
	v_fma_f16 v6, v38, -0.5, v6
	v_add_f16_e32 v23, v23, v17
	v_fma_f16 v38, v36, s17, v6
	v_sub_f16_e32 v39, v16, v42
	v_sub_f16_e32 v40, v17, v18
	v_fma_f16 v6, v36, s14, v6
	v_add_f16_e32 v36, v12, v10
	v_add_f16_e32 v23, v23, v18
	v_fma_f16 v38, v34, s15, v38
	v_add_f16_e32 v39, v39, v40
	v_fma_f16 v6, v34, s18, v6
	v_fma_f16 v36, v36, -0.5, v29
	v_sub_f16_e32 v18, v42, v18
	v_fma_f16 v38, v39, s16, v38
	v_fma_f16 v6, v39, s16, v6
	;; [unrolled: 1-line block ×3, first 2 shown]
	v_sub_f16_e32 v16, v16, v17
	v_fma_f16 v17, v16, s18, v39
	v_sub_f16_e32 v39, v14, v12
	v_sub_f16_e32 v40, v8, v10
	v_fma_f16 v36, v18, s14, v36
	v_add_f16_e32 v34, v29, v14
	v_add_f16_e32 v39, v39, v40
	v_fma_f16 v36, v16, s15, v36
	v_add_f16_e32 v34, v34, v12
	v_fma_f16 v17, v39, s16, v17
	v_fma_f16 v36, v39, s16, v36
	v_add_f16_e32 v39, v14, v8
	v_add_f16_e32 v34, v34, v10
	v_fma_f16 v29, v39, -0.5, v29
	v_add_f16_e32 v34, v34, v8
	v_fma_f16 v39, v16, s14, v29
	v_sub_f16_e32 v12, v12, v14
	v_sub_f16_e32 v8, v10, v8
	v_add_f16_e32 v14, v20, v21
	v_fma_f16 v39, v18, s18, v39
	v_add_f16_e32 v8, v12, v8
	v_fma_f16 v12, v16, s17, v29
	v_fma_f16 v14, v14, -0.5, v7
	v_sub_f16_e32 v16, v15, v9
	v_fma_f16 v10, v8, s16, v39
	v_fma_f16 v12, v18, s15, v12
	;; [unrolled: 1-line block ×3, first 2 shown]
	v_sub_f16_e32 v29, v13, v11
	v_sub_f16_e32 v39, v19, v20
	v_sub_f16_e32 v40, v22, v21
	v_fma_f16 v14, v16, s17, v14
	v_fma_f16 v18, v29, s15, v18
	v_add_f16_e32 v39, v39, v40
	v_fma_f16 v14, v29, s18, v14
	v_fma_f16 v18, v39, s16, v18
	;; [unrolled: 1-line block ×3, first 2 shown]
	v_add_f16_e32 v39, v19, v22
	v_lshrrev_b32_e32 v37, 16, v7
	v_fma_f16 v8, v8, s16, v12
	v_add_f16_e32 v12, v7, v19
	v_fma_f16 v7, v39, -0.5, v7
	v_add_f16_e32 v12, v12, v20
	v_fma_f16 v39, v29, s17, v7
	v_fma_f16 v7, v29, s14, v7
	v_add_f16_e32 v29, v13, v11
	v_add_f16_e32 v12, v12, v21
	v_sub_f16_e32 v40, v20, v19
	v_sub_f16_e32 v41, v21, v22
	v_fma_f16 v29, v29, -0.5, v37
	v_sub_f16_e32 v19, v19, v22
	v_add_f16_e32 v12, v12, v22
	v_fma_f16 v39, v16, s15, v39
	v_add_f16_e32 v40, v40, v41
	v_fma_f16 v7, v16, s18, v7
	v_fma_f16 v22, v19, s17, v29
	v_sub_f16_e32 v20, v20, v21
	v_fma_f16 v39, v40, s16, v39
	v_fma_f16 v7, v40, s16, v7
	v_add_f16_e32 v16, v37, v15
	v_fma_f16 v21, v20, s18, v22
	v_sub_f16_e32 v22, v15, v13
	v_sub_f16_e32 v40, v9, v11
	v_fma_f16 v29, v19, s14, v29
	v_add_f16_e32 v16, v16, v13
	v_add_f16_e32 v22, v22, v40
	v_fma_f16 v29, v20, s15, v29
	v_add_f16_e32 v16, v16, v11
	v_fma_f16 v21, v22, s16, v21
	v_fma_f16 v22, v22, s16, v29
	v_add_f16_e32 v29, v15, v9
	v_add_f16_e32 v16, v16, v9
	v_fma_f16 v29, v29, -0.5, v37
	v_sub_f16_e32 v13, v13, v15
	v_sub_f16_e32 v9, v11, v9
	v_fma_f16 v37, v20, s14, v29
	v_add_f16_e32 v9, v13, v9
	v_fma_f16 v13, v20, s17, v29
	v_pack_b32_f16 v15, v35, v17
	v_pack_b32_f16 v10, v38, v10
	v_add_u32_e32 v17, 0x300, v28
	v_fma_f16 v37, v19, s18, v37
	v_fma_f16 v13, v19, s15, v13
	ds_write2_b32 v17, v15, v10 offset0:29 offset1:250
	v_pack_b32_f16 v6, v6, v8
	v_pack_b32_f16 v8, v30, v36
	v_add_u32_e32 v10, 0xa00, v28
	v_fma_f16 v11, v9, s16, v37
	v_fma_f16 v9, v9, s16, v13
	v_pack_b32_f16 v13, v23, v34
	ds_write2_b32 v10, v6, v8 offset0:23 offset1:244
	v_pack_b32_f16 v6, v12, v16
	ds_write2_b32 v28, v13, v6 offset1:85
	v_pack_b32_f16 v6, v18, v21
	v_pack_b32_f16 v8, v39, v11
	v_add_u32_e32 v10, 0x300, v25
	ds_write2_b32 v10, v6, v8 offset0:29 offset1:250
	v_pack_b32_f16 v6, v7, v9
	v_pack_b32_f16 v7, v14, v22
	v_add_u32_e32 v8, 0xa00, v25
	ds_write2_b32 v8, v6, v7 offset0:23 offset1:244
	v_lshl_add_u32 v6, v45, 2, v43
	s_and_saveexec_b64 s[4:5], s[2:3]
	s_cbranch_execz .LBB0_21
; %bb.20:
	v_mul_f16_sdwa v7, v1, v26 dst_sel:DWORD dst_unused:UNUSED_PAD src0_sel:WORD_1 src1_sel:DWORD
	v_mul_f16_sdwa v8, v0, v5 dst_sel:DWORD dst_unused:UNUSED_PAD src0_sel:WORD_1 src1_sel:DWORD
	;; [unrolled: 1-line block ×4, first 2 shown]
	v_fma_f16 v7, v1, v32, -v7
	v_fma_f16 v8, v0, v33, -v8
	;; [unrolled: 1-line block ×4, first 2 shown]
	v_sub_f16_e32 v9, v7, v8
	v_sub_f16_e32 v12, v10, v11
	v_add_f16_e32 v9, v9, v12
	v_mul_f16_sdwa v12, v1, v32 dst_sel:DWORD dst_unused:UNUSED_PAD src0_sel:WORD_1 src1_sel:DWORD
	v_fma_f16 v1, v1, v26, v12
	v_mul_f16_sdwa v12, v2, v56 dst_sel:DWORD dst_unused:UNUSED_PAD src0_sel:WORD_1 src1_sel:DWORD
	v_mul_f16_sdwa v15, v0, v33 dst_sel:DWORD dst_unused:UNUSED_PAD src0_sel:WORD_1 src1_sel:DWORD
	v_fma_f16 v2, v2, v27, v12
	v_add_f16_e32 v13, v8, v11
	v_fma_f16 v0, v0, v5, v15
	v_mul_f16_sdwa v5, v3, v55 dst_sel:DWORD dst_unused:UNUSED_PAD src0_sel:WORD_1 src1_sel:DWORD
	v_sub_f16_e32 v12, v1, v2
	v_fma_f16 v13, v13, -0.5, v31
	v_fma_f16 v3, v3, v54, v5
	v_fma_f16 v14, v12, s17, v13
	v_sub_f16_e32 v5, v0, v3
	v_fma_f16 v13, v12, s14, v13
	v_fma_f16 v14, v5, s15, v14
	;; [unrolled: 1-line block ×5, first 2 shown]
	v_sub_f16_e32 v13, v8, v7
	v_sub_f16_e32 v15, v11, v10
	v_add_f16_e32 v13, v13, v15
	v_add_f16_e32 v15, v7, v10
	v_fma_f16 v15, v15, -0.5, v31
	v_fma_f16 v16, v5, s14, v15
	v_fma_f16 v5, v5, s17, v15
	;; [unrolled: 1-line block ×4, first 2 shown]
	v_add_f16_e32 v12, v31, v8
	v_add_f16_e32 v12, v12, v7
	;; [unrolled: 1-line block ×4, first 2 shown]
	v_sub_f16_e32 v8, v8, v11
	v_add_f16_e32 v11, v0, v3
	v_fma_f16 v11, v11, -0.5, v4
	v_sub_f16_e32 v7, v7, v10
	v_fma_f16 v16, v13, s16, v16
	v_fma_f16 v5, v13, s16, v5
	v_sub_f16_e32 v13, v1, v0
	v_sub_f16_e32 v15, v2, v3
	v_fma_f16 v10, v7, s14, v11
	v_fma_f16 v11, v7, s17, v11
	v_add_f16_e32 v13, v13, v15
	v_fma_f16 v10, v8, s18, v10
	v_fma_f16 v11, v8, s15, v11
	v_fma_f16 v10, v13, s16, v10
	v_fma_f16 v11, v13, s16, v11
	v_sub_f16_e32 v13, v0, v1
	v_sub_f16_e32 v15, v3, v2
	v_add_f16_e32 v13, v13, v15
	v_add_f16_e32 v15, v1, v2
	v_fma_f16 v15, v15, -0.5, v4
	v_add_f16_e32 v0, v4, v0
	v_fma_f16 v17, v8, s17, v15
	v_fma_f16 v8, v8, s14, v15
	v_add_f16_e32 v0, v0, v1
	v_fma_f16 v17, v7, s18, v17
	v_fma_f16 v7, v7, s15, v8
	v_add_f16_e32 v0, v0, v2
	v_fma_f16 v7, v13, s16, v7
	v_add_f16_e32 v0, v0, v3
	v_pack_b32_f16 v0, v0, v12
	v_pack_b32_f16 v1, v7, v5
	v_add_u32_e32 v2, 0x280, v6
	v_fma_f16 v17, v13, s16, v17
	ds_write2_b32 v2, v0, v1 offset0:10 offset1:231
	v_pack_b32_f16 v0, v11, v9
	v_pack_b32_f16 v1, v10, v14
	v_add_u32_e32 v2, 0x980, v6
	ds_write2_b32 v2, v0, v1 offset0:4 offset1:225
	v_pack_b32_f16 v0, v17, v16
	ds_write_b32 v6, v0 offset:4216
.LBB0_21:
	s_or_b64 exec, exec, s[4:5]
	s_waitcnt lgkmcnt(0)
	s_barrier
	s_and_b64 exec, exec, s[0:1]
	s_cbranch_execz .LBB0_23
; %bb.22:
	global_load_dword v9, v43, s[6:7]
	v_mad_u64_u32 v[1:2], s[0:1], s10, v24, 0
	v_mad_u64_u32 v[3:4], s[0:1], s8, v44, 0
	ds_read_b32 v10, v28
	s_mov_b32 s14, 0x1da7801e
	v_mad_u64_u32 v[7:8], s[0:1], s11, v24, v[2:3]
	s_mov_b32 s15, 0x3f4da780
	s_waitcnt lgkmcnt(0)
	v_lshrrev_b32_e32 v8, 16, v10
	v_mov_b32_e32 v2, v7
	v_lshlrev_b64 v[1:2], 2, v[1:2]
	v_mad_u64_u32 v[4:5], s[0:1], s9, v44, v[4:5]
	v_mov_b32_e32 v5, s13
	v_add_co_u32_e32 v11, vcc, s12, v1
	v_addc_co_u32_e32 v5, vcc, v5, v2, vcc
	v_lshlrev_b64 v[3:4], 2, v[3:4]
	s_movk_i32 s16, 0x1ff
	v_add_co_u32_e32 v3, vcc, v11, v3
	v_addc_co_u32_e32 v4, vcc, v5, v4, vcc
	s_movk_i32 s10, 0xffe
	v_mov_b32_e32 v0, 0x7c00
	s_movk_i32 s18, 0x40f
	s_mov_b32 s17, 0x8000
	s_waitcnt vmcnt(0)
	v_mul_f16_sdwa v7, v8, v9 dst_sel:DWORD dst_unused:UNUSED_PAD src0_sel:DWORD src1_sel:WORD_1
	v_fma_f16 v7, v10, v9, v7
	v_mul_f16_sdwa v10, v10, v9 dst_sel:DWORD dst_unused:UNUSED_PAD src0_sel:DWORD src1_sel:WORD_1
	v_cvt_f32_f16_e32 v7, v7
	v_fma_f16 v8, v9, v8, -v10
	v_cvt_f32_f16_e32 v9, v8
	v_cvt_f64_f32_e32 v[7:8], v7
	v_cvt_f64_f32_e32 v[9:10], v9
	v_mul_f64 v[7:8], v[7:8], s[14:15]
	v_mul_f64 v[1:2], v[9:10], s[14:15]
	v_and_or_b32 v5, v8, s16, v7
	v_cmp_ne_u32_e32 vcc, 0, v5
	v_and_or_b32 v1, v2, s16, v1
	v_lshrrev_b32_e32 v7, 8, v8
	v_bfe_u32 v9, v8, 20, 11
	v_cndmask_b32_e64 v5, 0, 1, vcc
	v_cmp_ne_u32_e32 vcc, 0, v1
	v_lshrrev_b32_e32 v10, 8, v2
	v_bfe_u32 v11, v2, 20, 11
	v_sub_u32_e32 v12, 0x3f1, v9
	v_cndmask_b32_e64 v1, 0, 1, vcc
	v_and_or_b32 v5, v7, s10, v5
	v_sub_u32_e32 v13, 0x3f1, v11
	v_med3_i32 v7, v12, 0, 13
	v_and_or_b32 v1, v10, s10, v1
	v_or_b32_e32 v12, 0x1000, v5
	v_add_u32_e32 v9, 0xfffffc10, v9
	v_med3_i32 v10, v13, 0, 13
	v_cmp_ne_u32_e32 vcc, 0, v5
	v_or_b32_e32 v14, 0x1000, v1
	v_lshrrev_b32_e32 v16, v7, v12
	v_add_u32_e32 v11, 0xfffffc10, v11
	v_lshl_or_b32 v13, v9, 12, v5
	v_cndmask_b32_e64 v5, 0, 1, vcc
	v_cmp_ne_u32_e32 vcc, 0, v1
	v_lshrrev_b32_e32 v17, v10, v14
	v_lshlrev_b32_e32 v7, v7, v16
	v_lshl_or_b32 v15, v11, 12, v1
	v_cndmask_b32_e64 v1, 0, 1, vcc
	v_lshlrev_b32_e32 v10, v10, v17
	v_cmp_ne_u32_e32 vcc, v7, v12
	v_cndmask_b32_e64 v7, 0, 1, vcc
	v_cmp_ne_u32_e32 vcc, v10, v14
	v_cndmask_b32_e64 v10, 0, 1, vcc
	v_or_b32_e32 v7, v16, v7
	v_cmp_gt_i32_e32 vcc, 1, v9
	v_cndmask_b32_e32 v7, v13, v7, vcc
	v_or_b32_e32 v10, v17, v10
	v_cmp_gt_i32_e32 vcc, 1, v11
	v_and_b32_e32 v12, 7, v7
	v_cndmask_b32_e32 v10, v15, v10, vcc
	v_cmp_lt_i32_e32 vcc, 5, v12
	v_cmp_eq_u32_e64 s[0:1], 3, v12
	v_lshrrev_b32_e32 v7, 2, v7
	v_and_b32_e32 v13, 7, v10
	s_or_b64 vcc, s[0:1], vcc
	v_cmp_lt_i32_e64 s[2:3], 5, v13
	v_cmp_eq_u32_e64 s[4:5], 3, v13
	v_addc_co_u32_e32 v7, vcc, 0, v7, vcc
	v_lshrrev_b32_e32 v10, 2, v10
	s_or_b64 vcc, s[4:5], s[2:3]
	v_addc_co_u32_e32 v10, vcc, 0, v10, vcc
	v_cmp_gt_i32_e32 vcc, 31, v9
	v_cndmask_b32_e32 v7, v0, v7, vcc
	v_cmp_gt_i32_e32 vcc, 31, v11
	v_lshl_or_b32 v5, v5, 9, v0
	v_cndmask_b32_e32 v10, v0, v10, vcc
	v_cmp_eq_u32_e32 vcc, s18, v9
	v_lshrrev_b32_e32 v8, 16, v8
	v_lshl_or_b32 v1, v1, 9, v0
	v_cndmask_b32_e32 v5, v7, v5, vcc
	v_cmp_eq_u32_e32 vcc, s18, v11
	v_lshrrev_b32_e32 v2, 16, v2
	v_cndmask_b32_e32 v1, v10, v1, vcc
	v_and_or_b32 v5, v8, s17, v5
	v_and_or_b32 v1, v2, s17, v1
	v_and_b32_e32 v2, 0xffff, v5
	v_lshl_or_b32 v1, v1, 16, v2
	global_store_dword v[3:4], v1, off
	global_load_dword v5, v43, s[6:7] offset:260
	ds_read2_b32 v[1:2], v6 offset0:65 offset1:130
	s_mul_i32 s0, s9, 0x104
	s_mul_hi_u32 s9, s8, 0x104
	s_mulk_i32 s8, 0x104
	s_add_i32 s9, s9, s0
	s_waitcnt lgkmcnt(0)
	v_lshrrev_b32_e32 v7, 16, v1
	v_add_co_u32_e32 v3, vcc, s8, v3
	s_waitcnt vmcnt(0)
	v_mul_f16_sdwa v8, v7, v5 dst_sel:DWORD dst_unused:UNUSED_PAD src0_sel:DWORD src1_sel:WORD_1
	v_fma_f16 v8, v1, v5, v8
	v_mul_f16_sdwa v1, v1, v5 dst_sel:DWORD dst_unused:UNUSED_PAD src0_sel:DWORD src1_sel:WORD_1
	v_cvt_f32_f16_e32 v8, v8
	v_fma_f16 v1, v5, v7, -v1
	v_cvt_f32_f16_e32 v1, v1
	v_cvt_f64_f32_e32 v[7:8], v8
	v_cvt_f64_f32_e32 v[9:10], v1
	v_mov_b32_e32 v1, s9
	v_mul_f64 v[7:8], v[7:8], s[14:15]
	v_addc_co_u32_e32 v4, vcc, v4, v1, vcc
	v_mul_f64 v[9:10], v[9:10], s[14:15]
	v_and_or_b32 v1, v8, s16, v7
	v_cmp_ne_u32_e32 vcc, 0, v1
	v_lshrrev_b32_e32 v5, 8, v8
	v_and_or_b32 v9, v10, s16, v9
	v_bfe_u32 v7, v8, 20, 11
	v_cndmask_b32_e64 v1, 0, 1, vcc
	v_cmp_ne_u32_e32 vcc, 0, v9
	v_lshrrev_b32_e32 v11, 8, v10
	v_bfe_u32 v12, v10, 20, 11
	v_sub_u32_e32 v13, 0x3f1, v7
	v_cndmask_b32_e64 v9, 0, 1, vcc
	v_and_or_b32 v1, v5, s10, v1
	v_sub_u32_e32 v14, 0x3f1, v12
	v_med3_i32 v5, v13, 0, 13
	v_and_or_b32 v9, v11, s10, v9
	v_or_b32_e32 v13, 0x1000, v1
	v_add_u32_e32 v7, 0xfffffc10, v7
	v_med3_i32 v11, v14, 0, 13
	v_cmp_ne_u32_e32 vcc, 0, v1
	v_or_b32_e32 v15, 0x1000, v9
	v_lshrrev_b32_e32 v17, v5, v13
	v_add_u32_e32 v12, 0xfffffc10, v12
	v_lshl_or_b32 v14, v7, 12, v1
	v_cndmask_b32_e64 v1, 0, 1, vcc
	v_cmp_ne_u32_e32 vcc, 0, v9
	v_lshrrev_b32_e32 v18, v11, v15
	v_lshlrev_b32_e32 v5, v5, v17
	v_lshl_or_b32 v16, v12, 12, v9
	v_cndmask_b32_e64 v9, 0, 1, vcc
	v_lshlrev_b32_e32 v11, v11, v18
	v_cmp_ne_u32_e32 vcc, v5, v13
	v_cndmask_b32_e64 v5, 0, 1, vcc
	v_cmp_ne_u32_e32 vcc, v11, v15
	v_cndmask_b32_e64 v11, 0, 1, vcc
	v_or_b32_e32 v5, v17, v5
	v_cmp_gt_i32_e32 vcc, 1, v7
	v_cndmask_b32_e32 v5, v14, v5, vcc
	v_or_b32_e32 v11, v18, v11
	v_cmp_gt_i32_e32 vcc, 1, v12
	v_and_b32_e32 v13, 7, v5
	v_cndmask_b32_e32 v11, v16, v11, vcc
	v_cmp_lt_i32_e32 vcc, 5, v13
	v_cmp_eq_u32_e64 s[0:1], 3, v13
	v_lshrrev_b32_e32 v5, 2, v5
	v_and_b32_e32 v14, 7, v11
	s_or_b64 vcc, s[0:1], vcc
	v_cmp_lt_i32_e64 s[2:3], 5, v14
	v_cmp_eq_u32_e64 s[4:5], 3, v14
	v_addc_co_u32_e32 v5, vcc, 0, v5, vcc
	v_lshrrev_b32_e32 v11, 2, v11
	s_or_b64 vcc, s[4:5], s[2:3]
	v_addc_co_u32_e32 v11, vcc, 0, v11, vcc
	v_cmp_gt_i32_e32 vcc, 31, v7
	v_cndmask_b32_e32 v5, v0, v5, vcc
	v_cmp_gt_i32_e32 vcc, 31, v12
	v_lshl_or_b32 v1, v1, 9, v0
	v_cndmask_b32_e32 v11, v0, v11, vcc
	v_cmp_eq_u32_e32 vcc, s18, v7
	v_lshrrev_b32_e32 v8, 16, v8
	v_lshl_or_b32 v9, v9, 9, v0
	v_cndmask_b32_e32 v1, v5, v1, vcc
	v_cmp_eq_u32_e32 vcc, s18, v12
	v_lshrrev_b32_e32 v10, 16, v10
	v_cndmask_b32_e32 v5, v11, v9, vcc
	v_and_or_b32 v1, v8, s17, v1
	v_and_or_b32 v5, v10, s17, v5
	v_and_b32_e32 v1, 0xffff, v1
	v_lshl_or_b32 v1, v5, 16, v1
	global_store_dword v[3:4], v1, off
	global_load_dword v1, v43, s[6:7] offset:520
	v_lshrrev_b32_e32 v5, 16, v2
	v_add_co_u32_e32 v3, vcc, s8, v3
	s_waitcnt vmcnt(0)
	v_mul_f16_sdwa v7, v5, v1 dst_sel:DWORD dst_unused:UNUSED_PAD src0_sel:DWORD src1_sel:WORD_1
	v_fma_f16 v7, v2, v1, v7
	v_mul_f16_sdwa v2, v2, v1 dst_sel:DWORD dst_unused:UNUSED_PAD src0_sel:DWORD src1_sel:WORD_1
	v_cvt_f32_f16_e32 v7, v7
	v_fma_f16 v1, v1, v5, -v2
	v_cvt_f32_f16_e32 v5, v1
	v_cvt_f64_f32_e32 v[1:2], v7
	v_cvt_f64_f32_e32 v[7:8], v5
	v_mov_b32_e32 v5, s9
	v_mul_f64 v[1:2], v[1:2], s[14:15]
	v_addc_co_u32_e32 v4, vcc, v4, v5, vcc
	v_mul_f64 v[7:8], v[7:8], s[14:15]
	v_and_or_b32 v1, v2, s16, v1
	v_cmp_ne_u32_e32 vcc, 0, v1
	v_lshrrev_b32_e32 v5, 8, v2
	v_and_or_b32 v7, v8, s16, v7
	v_bfe_u32 v9, v2, 20, 11
	v_cndmask_b32_e64 v1, 0, 1, vcc
	v_cmp_ne_u32_e32 vcc, 0, v7
	v_lshrrev_b32_e32 v10, 8, v8
	v_bfe_u32 v11, v8, 20, 11
	v_sub_u32_e32 v12, 0x3f1, v9
	v_cndmask_b32_e64 v7, 0, 1, vcc
	v_and_or_b32 v1, v5, s10, v1
	v_sub_u32_e32 v13, 0x3f1, v11
	v_med3_i32 v5, v12, 0, 13
	v_and_or_b32 v7, v10, s10, v7
	v_or_b32_e32 v12, 0x1000, v1
	v_add_u32_e32 v9, 0xfffffc10, v9
	v_med3_i32 v10, v13, 0, 13
	v_cmp_ne_u32_e32 vcc, 0, v1
	v_or_b32_e32 v14, 0x1000, v7
	v_lshrrev_b32_e32 v16, v5, v12
	v_add_u32_e32 v11, 0xfffffc10, v11
	v_lshl_or_b32 v13, v9, 12, v1
	v_cndmask_b32_e64 v1, 0, 1, vcc
	v_cmp_ne_u32_e32 vcc, 0, v7
	v_lshrrev_b32_e32 v17, v10, v14
	v_lshlrev_b32_e32 v5, v5, v16
	v_lshl_or_b32 v15, v11, 12, v7
	v_cndmask_b32_e64 v7, 0, 1, vcc
	v_lshlrev_b32_e32 v10, v10, v17
	v_cmp_ne_u32_e32 vcc, v5, v12
	v_cndmask_b32_e64 v5, 0, 1, vcc
	v_cmp_ne_u32_e32 vcc, v10, v14
	v_cndmask_b32_e64 v10, 0, 1, vcc
	v_or_b32_e32 v5, v16, v5
	v_cmp_gt_i32_e32 vcc, 1, v9
	v_cndmask_b32_e32 v5, v13, v5, vcc
	v_or_b32_e32 v10, v17, v10
	v_cmp_gt_i32_e32 vcc, 1, v11
	v_and_b32_e32 v12, 7, v5
	v_cndmask_b32_e32 v10, v15, v10, vcc
	v_cmp_lt_i32_e32 vcc, 5, v12
	v_cmp_eq_u32_e64 s[0:1], 3, v12
	v_lshrrev_b32_e32 v5, 2, v5
	v_and_b32_e32 v13, 7, v10
	s_or_b64 vcc, s[0:1], vcc
	v_cmp_lt_i32_e64 s[2:3], 5, v13
	v_cmp_eq_u32_e64 s[4:5], 3, v13
	v_addc_co_u32_e32 v5, vcc, 0, v5, vcc
	v_lshrrev_b32_e32 v10, 2, v10
	s_or_b64 vcc, s[4:5], s[2:3]
	v_addc_co_u32_e32 v10, vcc, 0, v10, vcc
	v_cmp_gt_i32_e32 vcc, 31, v9
	v_cndmask_b32_e32 v5, v0, v5, vcc
	v_cmp_gt_i32_e32 vcc, 31, v11
	v_lshl_or_b32 v1, v1, 9, v0
	v_cndmask_b32_e32 v10, v0, v10, vcc
	v_cmp_eq_u32_e32 vcc, s18, v9
	v_lshrrev_b32_e32 v2, 16, v2
	v_lshl_or_b32 v7, v7, 9, v0
	v_cndmask_b32_e32 v1, v5, v1, vcc
	v_cmp_eq_u32_e32 vcc, s18, v11
	v_lshrrev_b32_e32 v8, 16, v8
	v_cndmask_b32_e32 v5, v10, v7, vcc
	v_and_or_b32 v1, v2, s17, v1
	v_and_or_b32 v2, v8, s17, v5
	v_and_b32_e32 v1, 0xffff, v1
	v_lshl_or_b32 v1, v2, 16, v1
	global_store_dword v[3:4], v1, off
	global_load_dword v5, v43, s[6:7] offset:780
	v_add_u32_e32 v1, 0x200, v6
	ds_read2_b32 v[1:2], v1 offset0:67 offset1:132
	v_add_co_u32_e32 v3, vcc, s8, v3
	s_waitcnt lgkmcnt(0)
	v_lshrrev_b32_e32 v7, 16, v1
	s_waitcnt vmcnt(0)
	v_mul_f16_sdwa v8, v7, v5 dst_sel:DWORD dst_unused:UNUSED_PAD src0_sel:DWORD src1_sel:WORD_1
	v_fma_f16 v8, v1, v5, v8
	v_mul_f16_sdwa v1, v1, v5 dst_sel:DWORD dst_unused:UNUSED_PAD src0_sel:DWORD src1_sel:WORD_1
	v_cvt_f32_f16_e32 v8, v8
	v_fma_f16 v1, v5, v7, -v1
	v_cvt_f32_f16_e32 v1, v1
	v_cvt_f64_f32_e32 v[7:8], v8
	v_cvt_f64_f32_e32 v[9:10], v1
	v_mov_b32_e32 v1, s9
	v_mul_f64 v[7:8], v[7:8], s[14:15]
	v_addc_co_u32_e32 v4, vcc, v4, v1, vcc
	v_mul_f64 v[9:10], v[9:10], s[14:15]
	v_and_or_b32 v1, v8, s16, v7
	v_cmp_ne_u32_e32 vcc, 0, v1
	v_lshrrev_b32_e32 v5, 8, v8
	v_and_or_b32 v9, v10, s16, v9
	v_bfe_u32 v7, v8, 20, 11
	v_cndmask_b32_e64 v1, 0, 1, vcc
	v_cmp_ne_u32_e32 vcc, 0, v9
	v_lshrrev_b32_e32 v11, 8, v10
	v_bfe_u32 v12, v10, 20, 11
	v_sub_u32_e32 v13, 0x3f1, v7
	v_cndmask_b32_e64 v9, 0, 1, vcc
	v_and_or_b32 v1, v5, s10, v1
	v_sub_u32_e32 v14, 0x3f1, v12
	v_med3_i32 v5, v13, 0, 13
	v_and_or_b32 v9, v11, s10, v9
	v_or_b32_e32 v13, 0x1000, v1
	v_add_u32_e32 v7, 0xfffffc10, v7
	v_med3_i32 v11, v14, 0, 13
	v_cmp_ne_u32_e32 vcc, 0, v1
	v_or_b32_e32 v15, 0x1000, v9
	v_lshrrev_b32_e32 v17, v5, v13
	v_add_u32_e32 v12, 0xfffffc10, v12
	v_lshl_or_b32 v14, v7, 12, v1
	v_cndmask_b32_e64 v1, 0, 1, vcc
	v_cmp_ne_u32_e32 vcc, 0, v9
	v_lshrrev_b32_e32 v18, v11, v15
	v_lshlrev_b32_e32 v5, v5, v17
	v_lshl_or_b32 v16, v12, 12, v9
	v_cndmask_b32_e64 v9, 0, 1, vcc
	v_lshlrev_b32_e32 v11, v11, v18
	v_cmp_ne_u32_e32 vcc, v5, v13
	v_cndmask_b32_e64 v5, 0, 1, vcc
	v_cmp_ne_u32_e32 vcc, v11, v15
	v_cndmask_b32_e64 v11, 0, 1, vcc
	v_or_b32_e32 v5, v17, v5
	v_cmp_gt_i32_e32 vcc, 1, v7
	v_cndmask_b32_e32 v5, v14, v5, vcc
	v_or_b32_e32 v11, v18, v11
	v_cmp_gt_i32_e32 vcc, 1, v12
	v_and_b32_e32 v13, 7, v5
	v_cndmask_b32_e32 v11, v16, v11, vcc
	v_cmp_lt_i32_e32 vcc, 5, v13
	v_cmp_eq_u32_e64 s[0:1], 3, v13
	v_lshrrev_b32_e32 v5, 2, v5
	v_and_b32_e32 v14, 7, v11
	s_or_b64 vcc, s[0:1], vcc
	v_cmp_lt_i32_e64 s[2:3], 5, v14
	v_cmp_eq_u32_e64 s[4:5], 3, v14
	v_addc_co_u32_e32 v5, vcc, 0, v5, vcc
	v_lshrrev_b32_e32 v11, 2, v11
	s_or_b64 vcc, s[4:5], s[2:3]
	v_addc_co_u32_e32 v11, vcc, 0, v11, vcc
	v_cmp_gt_i32_e32 vcc, 31, v7
	v_cndmask_b32_e32 v5, v0, v5, vcc
	v_cmp_gt_i32_e32 vcc, 31, v12
	v_lshl_or_b32 v1, v1, 9, v0
	v_cndmask_b32_e32 v11, v0, v11, vcc
	v_cmp_eq_u32_e32 vcc, s18, v7
	v_lshrrev_b32_e32 v8, 16, v8
	v_lshl_or_b32 v9, v9, 9, v0
	v_cndmask_b32_e32 v1, v5, v1, vcc
	v_cmp_eq_u32_e32 vcc, s18, v12
	v_lshrrev_b32_e32 v10, 16, v10
	v_cndmask_b32_e32 v5, v11, v9, vcc
	v_and_or_b32 v1, v8, s17, v1
	v_and_or_b32 v5, v10, s17, v5
	v_and_b32_e32 v1, 0xffff, v1
	v_lshl_or_b32 v1, v5, 16, v1
	global_store_dword v[3:4], v1, off
	global_load_dword v1, v43, s[6:7] offset:1040
	v_lshrrev_b32_e32 v5, 16, v2
	v_add_co_u32_e32 v3, vcc, s8, v3
	s_waitcnt vmcnt(0)
	v_mul_f16_sdwa v7, v5, v1 dst_sel:DWORD dst_unused:UNUSED_PAD src0_sel:DWORD src1_sel:WORD_1
	v_fma_f16 v7, v2, v1, v7
	v_mul_f16_sdwa v2, v2, v1 dst_sel:DWORD dst_unused:UNUSED_PAD src0_sel:DWORD src1_sel:WORD_1
	v_cvt_f32_f16_e32 v7, v7
	v_fma_f16 v1, v1, v5, -v2
	v_cvt_f32_f16_e32 v5, v1
	v_cvt_f64_f32_e32 v[1:2], v7
	v_cvt_f64_f32_e32 v[7:8], v5
	v_mov_b32_e32 v5, s9
	v_mul_f64 v[1:2], v[1:2], s[14:15]
	v_addc_co_u32_e32 v4, vcc, v4, v5, vcc
	v_mul_f64 v[7:8], v[7:8], s[14:15]
	v_and_or_b32 v1, v2, s16, v1
	v_cmp_ne_u32_e32 vcc, 0, v1
	v_lshrrev_b32_e32 v5, 8, v2
	v_and_or_b32 v7, v8, s16, v7
	v_bfe_u32 v9, v2, 20, 11
	v_cndmask_b32_e64 v1, 0, 1, vcc
	v_cmp_ne_u32_e32 vcc, 0, v7
	v_lshrrev_b32_e32 v10, 8, v8
	v_bfe_u32 v11, v8, 20, 11
	v_sub_u32_e32 v12, 0x3f1, v9
	v_cndmask_b32_e64 v7, 0, 1, vcc
	v_and_or_b32 v1, v5, s10, v1
	v_sub_u32_e32 v13, 0x3f1, v11
	v_med3_i32 v5, v12, 0, 13
	v_and_or_b32 v7, v10, s10, v7
	v_or_b32_e32 v12, 0x1000, v1
	v_add_u32_e32 v9, 0xfffffc10, v9
	v_med3_i32 v10, v13, 0, 13
	v_cmp_ne_u32_e32 vcc, 0, v1
	v_or_b32_e32 v14, 0x1000, v7
	v_lshrrev_b32_e32 v16, v5, v12
	v_add_u32_e32 v11, 0xfffffc10, v11
	v_lshl_or_b32 v13, v9, 12, v1
	v_cndmask_b32_e64 v1, 0, 1, vcc
	v_cmp_ne_u32_e32 vcc, 0, v7
	v_lshrrev_b32_e32 v17, v10, v14
	v_lshlrev_b32_e32 v5, v5, v16
	v_lshl_or_b32 v15, v11, 12, v7
	v_cndmask_b32_e64 v7, 0, 1, vcc
	v_lshlrev_b32_e32 v10, v10, v17
	v_cmp_ne_u32_e32 vcc, v5, v12
	v_cndmask_b32_e64 v5, 0, 1, vcc
	v_cmp_ne_u32_e32 vcc, v10, v14
	v_cndmask_b32_e64 v10, 0, 1, vcc
	v_or_b32_e32 v5, v16, v5
	v_cmp_gt_i32_e32 vcc, 1, v9
	v_cndmask_b32_e32 v5, v13, v5, vcc
	v_or_b32_e32 v10, v17, v10
	v_cmp_gt_i32_e32 vcc, 1, v11
	v_and_b32_e32 v12, 7, v5
	v_cndmask_b32_e32 v10, v15, v10, vcc
	v_cmp_lt_i32_e32 vcc, 5, v12
	v_cmp_eq_u32_e64 s[0:1], 3, v12
	v_lshrrev_b32_e32 v5, 2, v5
	v_and_b32_e32 v13, 7, v10
	s_or_b64 vcc, s[0:1], vcc
	v_cmp_lt_i32_e64 s[2:3], 5, v13
	v_cmp_eq_u32_e64 s[4:5], 3, v13
	v_addc_co_u32_e32 v5, vcc, 0, v5, vcc
	v_lshrrev_b32_e32 v10, 2, v10
	s_or_b64 vcc, s[4:5], s[2:3]
	v_addc_co_u32_e32 v10, vcc, 0, v10, vcc
	v_cmp_gt_i32_e32 vcc, 31, v9
	v_cndmask_b32_e32 v5, v0, v5, vcc
	v_cmp_gt_i32_e32 vcc, 31, v11
	v_lshl_or_b32 v1, v1, 9, v0
	v_cndmask_b32_e32 v10, v0, v10, vcc
	v_cmp_eq_u32_e32 vcc, s18, v9
	v_lshrrev_b32_e32 v2, 16, v2
	v_lshl_or_b32 v7, v7, 9, v0
	v_cndmask_b32_e32 v1, v5, v1, vcc
	v_cmp_eq_u32_e32 vcc, s18, v11
	v_lshrrev_b32_e32 v8, 16, v8
	v_cndmask_b32_e32 v5, v10, v7, vcc
	v_and_or_b32 v1, v2, s17, v1
	v_and_or_b32 v2, v8, s17, v5
	v_and_b32_e32 v1, 0xffff, v1
	v_lshl_or_b32 v1, v2, 16, v1
	global_store_dword v[3:4], v1, off
	global_load_dword v5, v43, s[6:7] offset:1300
	v_add_u32_e32 v1, 0x400, v6
	ds_read2_b32 v[1:2], v1 offset0:69 offset1:134
	v_add_co_u32_e32 v3, vcc, s8, v3
	s_waitcnt lgkmcnt(0)
	v_lshrrev_b32_e32 v7, 16, v1
	s_waitcnt vmcnt(0)
	v_mul_f16_sdwa v8, v7, v5 dst_sel:DWORD dst_unused:UNUSED_PAD src0_sel:DWORD src1_sel:WORD_1
	v_fma_f16 v8, v1, v5, v8
	v_mul_f16_sdwa v1, v1, v5 dst_sel:DWORD dst_unused:UNUSED_PAD src0_sel:DWORD src1_sel:WORD_1
	v_cvt_f32_f16_e32 v8, v8
	v_fma_f16 v1, v5, v7, -v1
	v_cvt_f32_f16_e32 v1, v1
	v_cvt_f64_f32_e32 v[7:8], v8
	v_cvt_f64_f32_e32 v[9:10], v1
	v_mov_b32_e32 v1, s9
	v_mul_f64 v[7:8], v[7:8], s[14:15]
	v_addc_co_u32_e32 v4, vcc, v4, v1, vcc
	v_mul_f64 v[9:10], v[9:10], s[14:15]
	v_and_or_b32 v1, v8, s16, v7
	v_cmp_ne_u32_e32 vcc, 0, v1
	v_lshrrev_b32_e32 v5, 8, v8
	v_and_or_b32 v9, v10, s16, v9
	v_bfe_u32 v7, v8, 20, 11
	v_cndmask_b32_e64 v1, 0, 1, vcc
	v_cmp_ne_u32_e32 vcc, 0, v9
	v_lshrrev_b32_e32 v11, 8, v10
	v_bfe_u32 v12, v10, 20, 11
	v_sub_u32_e32 v13, 0x3f1, v7
	v_cndmask_b32_e64 v9, 0, 1, vcc
	v_and_or_b32 v1, v5, s10, v1
	v_sub_u32_e32 v14, 0x3f1, v12
	v_med3_i32 v5, v13, 0, 13
	v_and_or_b32 v9, v11, s10, v9
	v_or_b32_e32 v13, 0x1000, v1
	v_add_u32_e32 v7, 0xfffffc10, v7
	v_med3_i32 v11, v14, 0, 13
	v_cmp_ne_u32_e32 vcc, 0, v1
	v_or_b32_e32 v15, 0x1000, v9
	v_lshrrev_b32_e32 v17, v5, v13
	v_add_u32_e32 v12, 0xfffffc10, v12
	v_lshl_or_b32 v14, v7, 12, v1
	v_cndmask_b32_e64 v1, 0, 1, vcc
	v_cmp_ne_u32_e32 vcc, 0, v9
	v_lshrrev_b32_e32 v18, v11, v15
	v_lshlrev_b32_e32 v5, v5, v17
	v_lshl_or_b32 v16, v12, 12, v9
	v_cndmask_b32_e64 v9, 0, 1, vcc
	v_lshlrev_b32_e32 v11, v11, v18
	v_cmp_ne_u32_e32 vcc, v5, v13
	v_cndmask_b32_e64 v5, 0, 1, vcc
	v_cmp_ne_u32_e32 vcc, v11, v15
	v_cndmask_b32_e64 v11, 0, 1, vcc
	v_or_b32_e32 v5, v17, v5
	v_cmp_gt_i32_e32 vcc, 1, v7
	v_cndmask_b32_e32 v5, v14, v5, vcc
	v_or_b32_e32 v11, v18, v11
	v_cmp_gt_i32_e32 vcc, 1, v12
	v_and_b32_e32 v13, 7, v5
	v_cndmask_b32_e32 v11, v16, v11, vcc
	v_cmp_lt_i32_e32 vcc, 5, v13
	v_cmp_eq_u32_e64 s[0:1], 3, v13
	v_lshrrev_b32_e32 v5, 2, v5
	v_and_b32_e32 v14, 7, v11
	s_or_b64 vcc, s[0:1], vcc
	v_cmp_lt_i32_e64 s[2:3], 5, v14
	v_cmp_eq_u32_e64 s[4:5], 3, v14
	v_addc_co_u32_e32 v5, vcc, 0, v5, vcc
	v_lshrrev_b32_e32 v11, 2, v11
	s_or_b64 vcc, s[4:5], s[2:3]
	v_addc_co_u32_e32 v11, vcc, 0, v11, vcc
	v_cmp_gt_i32_e32 vcc, 31, v7
	v_cndmask_b32_e32 v5, v0, v5, vcc
	v_cmp_gt_i32_e32 vcc, 31, v12
	v_lshl_or_b32 v1, v1, 9, v0
	v_cndmask_b32_e32 v11, v0, v11, vcc
	v_cmp_eq_u32_e32 vcc, s18, v7
	v_lshrrev_b32_e32 v8, 16, v8
	v_lshl_or_b32 v9, v9, 9, v0
	v_cndmask_b32_e32 v1, v5, v1, vcc
	v_cmp_eq_u32_e32 vcc, s18, v12
	v_lshrrev_b32_e32 v10, 16, v10
	v_cndmask_b32_e32 v5, v11, v9, vcc
	v_and_or_b32 v1, v8, s17, v1
	v_and_or_b32 v5, v10, s17, v5
	v_and_b32_e32 v1, 0xffff, v1
	v_lshl_or_b32 v1, v5, 16, v1
	global_store_dword v[3:4], v1, off
	global_load_dword v1, v43, s[6:7] offset:1560
	v_lshrrev_b32_e32 v5, 16, v2
	v_add_co_u32_e32 v3, vcc, s8, v3
	s_waitcnt vmcnt(0)
	v_mul_f16_sdwa v7, v5, v1 dst_sel:DWORD dst_unused:UNUSED_PAD src0_sel:DWORD src1_sel:WORD_1
	v_fma_f16 v7, v2, v1, v7
	v_mul_f16_sdwa v2, v2, v1 dst_sel:DWORD dst_unused:UNUSED_PAD src0_sel:DWORD src1_sel:WORD_1
	v_cvt_f32_f16_e32 v7, v7
	v_fma_f16 v1, v1, v5, -v2
	v_cvt_f32_f16_e32 v5, v1
	v_cvt_f64_f32_e32 v[1:2], v7
	v_cvt_f64_f32_e32 v[7:8], v5
	v_mov_b32_e32 v5, s9
	v_mul_f64 v[1:2], v[1:2], s[14:15]
	v_addc_co_u32_e32 v4, vcc, v4, v5, vcc
	v_mul_f64 v[7:8], v[7:8], s[14:15]
	v_and_or_b32 v1, v2, s16, v1
	v_cmp_ne_u32_e32 vcc, 0, v1
	v_lshrrev_b32_e32 v5, 8, v2
	v_and_or_b32 v7, v8, s16, v7
	v_bfe_u32 v9, v2, 20, 11
	v_cndmask_b32_e64 v1, 0, 1, vcc
	v_cmp_ne_u32_e32 vcc, 0, v7
	v_lshrrev_b32_e32 v10, 8, v8
	v_bfe_u32 v11, v8, 20, 11
	v_sub_u32_e32 v12, 0x3f1, v9
	v_cndmask_b32_e64 v7, 0, 1, vcc
	v_and_or_b32 v1, v5, s10, v1
	v_sub_u32_e32 v13, 0x3f1, v11
	v_med3_i32 v5, v12, 0, 13
	v_and_or_b32 v7, v10, s10, v7
	v_or_b32_e32 v12, 0x1000, v1
	v_add_u32_e32 v9, 0xfffffc10, v9
	v_med3_i32 v10, v13, 0, 13
	v_cmp_ne_u32_e32 vcc, 0, v1
	v_or_b32_e32 v14, 0x1000, v7
	v_lshrrev_b32_e32 v16, v5, v12
	v_add_u32_e32 v11, 0xfffffc10, v11
	v_lshl_or_b32 v13, v9, 12, v1
	v_cndmask_b32_e64 v1, 0, 1, vcc
	v_cmp_ne_u32_e32 vcc, 0, v7
	v_lshrrev_b32_e32 v17, v10, v14
	v_lshlrev_b32_e32 v5, v5, v16
	v_lshl_or_b32 v15, v11, 12, v7
	v_cndmask_b32_e64 v7, 0, 1, vcc
	v_lshlrev_b32_e32 v10, v10, v17
	v_cmp_ne_u32_e32 vcc, v5, v12
	v_cndmask_b32_e64 v5, 0, 1, vcc
	v_cmp_ne_u32_e32 vcc, v10, v14
	v_cndmask_b32_e64 v10, 0, 1, vcc
	v_or_b32_e32 v5, v16, v5
	v_cmp_gt_i32_e32 vcc, 1, v9
	v_cndmask_b32_e32 v5, v13, v5, vcc
	v_or_b32_e32 v10, v17, v10
	v_cmp_gt_i32_e32 vcc, 1, v11
	v_and_b32_e32 v12, 7, v5
	v_cndmask_b32_e32 v10, v15, v10, vcc
	v_cmp_lt_i32_e32 vcc, 5, v12
	v_cmp_eq_u32_e64 s[0:1], 3, v12
	v_lshrrev_b32_e32 v5, 2, v5
	v_and_b32_e32 v13, 7, v10
	s_or_b64 vcc, s[0:1], vcc
	v_cmp_lt_i32_e64 s[2:3], 5, v13
	v_cmp_eq_u32_e64 s[4:5], 3, v13
	v_addc_co_u32_e32 v5, vcc, 0, v5, vcc
	v_lshrrev_b32_e32 v10, 2, v10
	s_or_b64 vcc, s[4:5], s[2:3]
	v_addc_co_u32_e32 v10, vcc, 0, v10, vcc
	v_cmp_gt_i32_e32 vcc, 31, v9
	v_cndmask_b32_e32 v5, v0, v5, vcc
	v_cmp_gt_i32_e32 vcc, 31, v11
	v_lshl_or_b32 v1, v1, 9, v0
	v_cndmask_b32_e32 v10, v0, v10, vcc
	v_cmp_eq_u32_e32 vcc, s18, v9
	v_lshrrev_b32_e32 v2, 16, v2
	v_lshl_or_b32 v7, v7, 9, v0
	v_cndmask_b32_e32 v1, v5, v1, vcc
	v_cmp_eq_u32_e32 vcc, s18, v11
	v_lshrrev_b32_e32 v8, 16, v8
	v_cndmask_b32_e32 v5, v10, v7, vcc
	v_and_or_b32 v1, v2, s17, v1
	v_and_or_b32 v2, v8, s17, v5
	v_and_b32_e32 v1, 0xffff, v1
	v_lshl_or_b32 v1, v2, 16, v1
	global_store_dword v[3:4], v1, off
	global_load_dword v5, v43, s[6:7] offset:1820
	v_add_u32_e32 v1, 0x600, v6
	ds_read2_b32 v[1:2], v1 offset0:71 offset1:136
	v_add_co_u32_e32 v3, vcc, s8, v3
	s_waitcnt lgkmcnt(0)
	v_lshrrev_b32_e32 v7, 16, v1
	s_waitcnt vmcnt(0)
	v_mul_f16_sdwa v8, v7, v5 dst_sel:DWORD dst_unused:UNUSED_PAD src0_sel:DWORD src1_sel:WORD_1
	v_fma_f16 v8, v1, v5, v8
	v_mul_f16_sdwa v1, v1, v5 dst_sel:DWORD dst_unused:UNUSED_PAD src0_sel:DWORD src1_sel:WORD_1
	v_cvt_f32_f16_e32 v8, v8
	v_fma_f16 v1, v5, v7, -v1
	v_cvt_f32_f16_e32 v1, v1
	v_cvt_f64_f32_e32 v[7:8], v8
	v_cvt_f64_f32_e32 v[9:10], v1
	v_mov_b32_e32 v1, s9
	v_mul_f64 v[7:8], v[7:8], s[14:15]
	v_addc_co_u32_e32 v4, vcc, v4, v1, vcc
	v_mul_f64 v[9:10], v[9:10], s[14:15]
	v_and_or_b32 v1, v8, s16, v7
	v_cmp_ne_u32_e32 vcc, 0, v1
	v_lshrrev_b32_e32 v5, 8, v8
	v_and_or_b32 v9, v10, s16, v9
	v_bfe_u32 v7, v8, 20, 11
	v_cndmask_b32_e64 v1, 0, 1, vcc
	v_cmp_ne_u32_e32 vcc, 0, v9
	v_lshrrev_b32_e32 v11, 8, v10
	v_bfe_u32 v12, v10, 20, 11
	v_sub_u32_e32 v13, 0x3f1, v7
	v_cndmask_b32_e64 v9, 0, 1, vcc
	v_and_or_b32 v1, v5, s10, v1
	v_sub_u32_e32 v14, 0x3f1, v12
	v_med3_i32 v5, v13, 0, 13
	v_and_or_b32 v9, v11, s10, v9
	v_or_b32_e32 v13, 0x1000, v1
	v_add_u32_e32 v7, 0xfffffc10, v7
	v_med3_i32 v11, v14, 0, 13
	v_cmp_ne_u32_e32 vcc, 0, v1
	v_or_b32_e32 v15, 0x1000, v9
	v_lshrrev_b32_e32 v17, v5, v13
	v_add_u32_e32 v12, 0xfffffc10, v12
	v_lshl_or_b32 v14, v7, 12, v1
	v_cndmask_b32_e64 v1, 0, 1, vcc
	v_cmp_ne_u32_e32 vcc, 0, v9
	v_lshrrev_b32_e32 v18, v11, v15
	v_lshlrev_b32_e32 v5, v5, v17
	v_lshl_or_b32 v16, v12, 12, v9
	v_cndmask_b32_e64 v9, 0, 1, vcc
	v_lshlrev_b32_e32 v11, v11, v18
	v_cmp_ne_u32_e32 vcc, v5, v13
	v_cndmask_b32_e64 v5, 0, 1, vcc
	v_cmp_ne_u32_e32 vcc, v11, v15
	v_cndmask_b32_e64 v11, 0, 1, vcc
	v_or_b32_e32 v5, v17, v5
	v_cmp_gt_i32_e32 vcc, 1, v7
	v_cndmask_b32_e32 v5, v14, v5, vcc
	v_or_b32_e32 v11, v18, v11
	v_cmp_gt_i32_e32 vcc, 1, v12
	v_and_b32_e32 v13, 7, v5
	v_cndmask_b32_e32 v11, v16, v11, vcc
	v_cmp_lt_i32_e32 vcc, 5, v13
	v_cmp_eq_u32_e64 s[0:1], 3, v13
	v_lshrrev_b32_e32 v5, 2, v5
	v_and_b32_e32 v14, 7, v11
	s_or_b64 vcc, s[0:1], vcc
	v_cmp_lt_i32_e64 s[2:3], 5, v14
	v_cmp_eq_u32_e64 s[4:5], 3, v14
	v_addc_co_u32_e32 v5, vcc, 0, v5, vcc
	v_lshrrev_b32_e32 v11, 2, v11
	s_or_b64 vcc, s[4:5], s[2:3]
	v_addc_co_u32_e32 v11, vcc, 0, v11, vcc
	v_cmp_gt_i32_e32 vcc, 31, v7
	v_cndmask_b32_e32 v5, v0, v5, vcc
	v_cmp_gt_i32_e32 vcc, 31, v12
	v_lshl_or_b32 v1, v1, 9, v0
	v_cndmask_b32_e32 v11, v0, v11, vcc
	v_cmp_eq_u32_e32 vcc, s18, v7
	v_lshrrev_b32_e32 v8, 16, v8
	v_lshl_or_b32 v9, v9, 9, v0
	v_cndmask_b32_e32 v1, v5, v1, vcc
	v_cmp_eq_u32_e32 vcc, s18, v12
	v_lshrrev_b32_e32 v10, 16, v10
	v_cndmask_b32_e32 v5, v11, v9, vcc
	v_and_or_b32 v1, v8, s17, v1
	v_and_or_b32 v5, v10, s17, v5
	v_and_b32_e32 v1, 0xffff, v1
	v_lshl_or_b32 v1, v5, 16, v1
	global_store_dword v[3:4], v1, off
	global_load_dword v1, v43, s[6:7] offset:2080
	v_lshrrev_b32_e32 v5, 16, v2
	v_add_co_u32_e32 v3, vcc, s8, v3
	s_waitcnt vmcnt(0)
	v_mul_f16_sdwa v7, v5, v1 dst_sel:DWORD dst_unused:UNUSED_PAD src0_sel:DWORD src1_sel:WORD_1
	v_fma_f16 v7, v2, v1, v7
	v_mul_f16_sdwa v2, v2, v1 dst_sel:DWORD dst_unused:UNUSED_PAD src0_sel:DWORD src1_sel:WORD_1
	v_cvt_f32_f16_e32 v7, v7
	v_fma_f16 v1, v1, v5, -v2
	v_cvt_f32_f16_e32 v5, v1
	v_cvt_f64_f32_e32 v[1:2], v7
	v_cvt_f64_f32_e32 v[7:8], v5
	v_mov_b32_e32 v5, s9
	v_mul_f64 v[1:2], v[1:2], s[14:15]
	v_addc_co_u32_e32 v4, vcc, v4, v5, vcc
	v_mul_f64 v[7:8], v[7:8], s[14:15]
	v_and_or_b32 v1, v2, s16, v1
	v_cmp_ne_u32_e32 vcc, 0, v1
	v_lshrrev_b32_e32 v5, 8, v2
	v_and_or_b32 v7, v8, s16, v7
	v_bfe_u32 v9, v2, 20, 11
	v_cndmask_b32_e64 v1, 0, 1, vcc
	v_cmp_ne_u32_e32 vcc, 0, v7
	v_lshrrev_b32_e32 v10, 8, v8
	v_bfe_u32 v11, v8, 20, 11
	v_sub_u32_e32 v12, 0x3f1, v9
	v_cndmask_b32_e64 v7, 0, 1, vcc
	v_and_or_b32 v1, v5, s10, v1
	v_sub_u32_e32 v13, 0x3f1, v11
	v_med3_i32 v5, v12, 0, 13
	v_and_or_b32 v7, v10, s10, v7
	v_or_b32_e32 v12, 0x1000, v1
	v_add_u32_e32 v9, 0xfffffc10, v9
	v_med3_i32 v10, v13, 0, 13
	v_cmp_ne_u32_e32 vcc, 0, v1
	v_or_b32_e32 v14, 0x1000, v7
	v_lshrrev_b32_e32 v16, v5, v12
	v_add_u32_e32 v11, 0xfffffc10, v11
	v_lshl_or_b32 v13, v9, 12, v1
	v_cndmask_b32_e64 v1, 0, 1, vcc
	v_cmp_ne_u32_e32 vcc, 0, v7
	v_lshrrev_b32_e32 v17, v10, v14
	v_lshlrev_b32_e32 v5, v5, v16
	v_lshl_or_b32 v15, v11, 12, v7
	v_cndmask_b32_e64 v7, 0, 1, vcc
	v_lshlrev_b32_e32 v10, v10, v17
	v_cmp_ne_u32_e32 vcc, v5, v12
	v_cndmask_b32_e64 v5, 0, 1, vcc
	v_cmp_ne_u32_e32 vcc, v10, v14
	v_cndmask_b32_e64 v10, 0, 1, vcc
	v_or_b32_e32 v5, v16, v5
	v_cmp_gt_i32_e32 vcc, 1, v9
	v_cndmask_b32_e32 v5, v13, v5, vcc
	v_or_b32_e32 v10, v17, v10
	v_cmp_gt_i32_e32 vcc, 1, v11
	v_and_b32_e32 v12, 7, v5
	v_cndmask_b32_e32 v10, v15, v10, vcc
	v_cmp_lt_i32_e32 vcc, 5, v12
	v_cmp_eq_u32_e64 s[0:1], 3, v12
	v_lshrrev_b32_e32 v5, 2, v5
	v_and_b32_e32 v13, 7, v10
	s_or_b64 vcc, s[0:1], vcc
	v_cmp_lt_i32_e64 s[2:3], 5, v13
	v_cmp_eq_u32_e64 s[4:5], 3, v13
	v_addc_co_u32_e32 v5, vcc, 0, v5, vcc
	v_lshrrev_b32_e32 v10, 2, v10
	s_or_b64 vcc, s[4:5], s[2:3]
	v_addc_co_u32_e32 v10, vcc, 0, v10, vcc
	v_cmp_gt_i32_e32 vcc, 31, v9
	v_cndmask_b32_e32 v5, v0, v5, vcc
	v_cmp_gt_i32_e32 vcc, 31, v11
	v_lshl_or_b32 v1, v1, 9, v0
	v_cndmask_b32_e32 v10, v0, v10, vcc
	v_cmp_eq_u32_e32 vcc, s18, v9
	v_lshrrev_b32_e32 v2, 16, v2
	v_lshl_or_b32 v7, v7, 9, v0
	v_cndmask_b32_e32 v1, v5, v1, vcc
	v_cmp_eq_u32_e32 vcc, s18, v11
	v_lshrrev_b32_e32 v8, 16, v8
	v_cndmask_b32_e32 v5, v10, v7, vcc
	v_and_or_b32 v1, v2, s17, v1
	v_and_or_b32 v2, v8, s17, v5
	v_and_b32_e32 v1, 0xffff, v1
	v_lshl_or_b32 v1, v2, 16, v1
	global_store_dword v[3:4], v1, off
	global_load_dword v5, v43, s[6:7] offset:2340
	v_add_u32_e32 v1, 0x800, v6
	ds_read2_b32 v[1:2], v1 offset0:73 offset1:138
	v_add_co_u32_e32 v3, vcc, s8, v3
	s_waitcnt lgkmcnt(0)
	v_lshrrev_b32_e32 v7, 16, v1
	s_waitcnt vmcnt(0)
	v_mul_f16_sdwa v8, v7, v5 dst_sel:DWORD dst_unused:UNUSED_PAD src0_sel:DWORD src1_sel:WORD_1
	v_fma_f16 v8, v1, v5, v8
	v_mul_f16_sdwa v1, v1, v5 dst_sel:DWORD dst_unused:UNUSED_PAD src0_sel:DWORD src1_sel:WORD_1
	v_cvt_f32_f16_e32 v8, v8
	v_fma_f16 v1, v5, v7, -v1
	v_cvt_f32_f16_e32 v1, v1
	v_cvt_f64_f32_e32 v[7:8], v8
	v_cvt_f64_f32_e32 v[9:10], v1
	v_mov_b32_e32 v1, s9
	v_mul_f64 v[7:8], v[7:8], s[14:15]
	v_addc_co_u32_e32 v4, vcc, v4, v1, vcc
	v_mul_f64 v[9:10], v[9:10], s[14:15]
	v_and_or_b32 v1, v8, s16, v7
	v_cmp_ne_u32_e32 vcc, 0, v1
	v_lshrrev_b32_e32 v5, 8, v8
	v_and_or_b32 v9, v10, s16, v9
	v_bfe_u32 v7, v8, 20, 11
	v_cndmask_b32_e64 v1, 0, 1, vcc
	v_cmp_ne_u32_e32 vcc, 0, v9
	v_lshrrev_b32_e32 v11, 8, v10
	v_bfe_u32 v12, v10, 20, 11
	v_sub_u32_e32 v13, 0x3f1, v7
	v_cndmask_b32_e64 v9, 0, 1, vcc
	v_and_or_b32 v1, v5, s10, v1
	v_sub_u32_e32 v14, 0x3f1, v12
	v_med3_i32 v5, v13, 0, 13
	v_and_or_b32 v9, v11, s10, v9
	v_or_b32_e32 v13, 0x1000, v1
	v_add_u32_e32 v7, 0xfffffc10, v7
	v_med3_i32 v11, v14, 0, 13
	v_cmp_ne_u32_e32 vcc, 0, v1
	v_or_b32_e32 v15, 0x1000, v9
	v_lshrrev_b32_e32 v17, v5, v13
	v_add_u32_e32 v12, 0xfffffc10, v12
	v_lshl_or_b32 v14, v7, 12, v1
	v_cndmask_b32_e64 v1, 0, 1, vcc
	v_cmp_ne_u32_e32 vcc, 0, v9
	v_lshrrev_b32_e32 v18, v11, v15
	v_lshlrev_b32_e32 v5, v5, v17
	v_lshl_or_b32 v16, v12, 12, v9
	v_cndmask_b32_e64 v9, 0, 1, vcc
	v_lshlrev_b32_e32 v11, v11, v18
	v_cmp_ne_u32_e32 vcc, v5, v13
	v_cndmask_b32_e64 v5, 0, 1, vcc
	v_cmp_ne_u32_e32 vcc, v11, v15
	v_cndmask_b32_e64 v11, 0, 1, vcc
	v_or_b32_e32 v5, v17, v5
	v_cmp_gt_i32_e32 vcc, 1, v7
	v_cndmask_b32_e32 v5, v14, v5, vcc
	v_or_b32_e32 v11, v18, v11
	v_cmp_gt_i32_e32 vcc, 1, v12
	v_and_b32_e32 v13, 7, v5
	v_cndmask_b32_e32 v11, v16, v11, vcc
	v_cmp_lt_i32_e32 vcc, 5, v13
	v_cmp_eq_u32_e64 s[0:1], 3, v13
	v_lshrrev_b32_e32 v5, 2, v5
	v_and_b32_e32 v14, 7, v11
	s_or_b64 vcc, s[0:1], vcc
	v_cmp_lt_i32_e64 s[2:3], 5, v14
	v_cmp_eq_u32_e64 s[4:5], 3, v14
	v_addc_co_u32_e32 v5, vcc, 0, v5, vcc
	v_lshrrev_b32_e32 v11, 2, v11
	s_or_b64 vcc, s[4:5], s[2:3]
	v_addc_co_u32_e32 v11, vcc, 0, v11, vcc
	v_cmp_gt_i32_e32 vcc, 31, v7
	v_cndmask_b32_e32 v5, v0, v5, vcc
	v_cmp_gt_i32_e32 vcc, 31, v12
	v_lshl_or_b32 v1, v1, 9, v0
	v_cndmask_b32_e32 v11, v0, v11, vcc
	v_cmp_eq_u32_e32 vcc, s18, v7
	v_lshrrev_b32_e32 v8, 16, v8
	v_lshl_or_b32 v9, v9, 9, v0
	v_cndmask_b32_e32 v1, v5, v1, vcc
	v_cmp_eq_u32_e32 vcc, s18, v12
	v_lshrrev_b32_e32 v10, 16, v10
	v_cndmask_b32_e32 v5, v11, v9, vcc
	v_and_or_b32 v1, v8, s17, v1
	v_and_or_b32 v5, v10, s17, v5
	v_and_b32_e32 v1, 0xffff, v1
	v_lshl_or_b32 v1, v5, 16, v1
	global_store_dword v[3:4], v1, off
	global_load_dword v1, v43, s[6:7] offset:2600
	v_lshrrev_b32_e32 v5, 16, v2
	v_add_co_u32_e32 v3, vcc, s8, v3
	s_waitcnt vmcnt(0)
	v_mul_f16_sdwa v7, v5, v1 dst_sel:DWORD dst_unused:UNUSED_PAD src0_sel:DWORD src1_sel:WORD_1
	v_fma_f16 v7, v2, v1, v7
	v_mul_f16_sdwa v2, v2, v1 dst_sel:DWORD dst_unused:UNUSED_PAD src0_sel:DWORD src1_sel:WORD_1
	v_cvt_f32_f16_e32 v7, v7
	v_fma_f16 v1, v1, v5, -v2
	v_cvt_f32_f16_e32 v5, v1
	v_cvt_f64_f32_e32 v[1:2], v7
	v_cvt_f64_f32_e32 v[7:8], v5
	v_mov_b32_e32 v5, s9
	v_mul_f64 v[1:2], v[1:2], s[14:15]
	v_addc_co_u32_e32 v4, vcc, v4, v5, vcc
	v_mul_f64 v[7:8], v[7:8], s[14:15]
	v_and_or_b32 v1, v2, s16, v1
	v_cmp_ne_u32_e32 vcc, 0, v1
	v_lshrrev_b32_e32 v5, 8, v2
	v_and_or_b32 v7, v8, s16, v7
	v_bfe_u32 v9, v2, 20, 11
	v_cndmask_b32_e64 v1, 0, 1, vcc
	v_cmp_ne_u32_e32 vcc, 0, v7
	v_lshrrev_b32_e32 v10, 8, v8
	v_bfe_u32 v11, v8, 20, 11
	v_sub_u32_e32 v12, 0x3f1, v9
	v_cndmask_b32_e64 v7, 0, 1, vcc
	v_and_or_b32 v1, v5, s10, v1
	v_sub_u32_e32 v13, 0x3f1, v11
	v_med3_i32 v5, v12, 0, 13
	v_and_or_b32 v7, v10, s10, v7
	v_or_b32_e32 v12, 0x1000, v1
	v_add_u32_e32 v9, 0xfffffc10, v9
	v_med3_i32 v10, v13, 0, 13
	v_cmp_ne_u32_e32 vcc, 0, v1
	v_or_b32_e32 v14, 0x1000, v7
	v_lshrrev_b32_e32 v16, v5, v12
	v_add_u32_e32 v11, 0xfffffc10, v11
	v_lshl_or_b32 v13, v9, 12, v1
	v_cndmask_b32_e64 v1, 0, 1, vcc
	v_cmp_ne_u32_e32 vcc, 0, v7
	v_lshrrev_b32_e32 v17, v10, v14
	v_lshlrev_b32_e32 v5, v5, v16
	v_lshl_or_b32 v15, v11, 12, v7
	v_cndmask_b32_e64 v7, 0, 1, vcc
	v_lshlrev_b32_e32 v10, v10, v17
	v_cmp_ne_u32_e32 vcc, v5, v12
	v_cndmask_b32_e64 v5, 0, 1, vcc
	v_cmp_ne_u32_e32 vcc, v10, v14
	v_cndmask_b32_e64 v10, 0, 1, vcc
	v_or_b32_e32 v5, v16, v5
	v_cmp_gt_i32_e32 vcc, 1, v9
	v_cndmask_b32_e32 v5, v13, v5, vcc
	v_or_b32_e32 v10, v17, v10
	v_cmp_gt_i32_e32 vcc, 1, v11
	v_and_b32_e32 v12, 7, v5
	v_cndmask_b32_e32 v10, v15, v10, vcc
	v_cmp_lt_i32_e32 vcc, 5, v12
	v_cmp_eq_u32_e64 s[0:1], 3, v12
	v_lshrrev_b32_e32 v5, 2, v5
	v_and_b32_e32 v13, 7, v10
	s_or_b64 vcc, s[0:1], vcc
	v_cmp_lt_i32_e64 s[2:3], 5, v13
	v_cmp_eq_u32_e64 s[4:5], 3, v13
	v_addc_co_u32_e32 v5, vcc, 0, v5, vcc
	v_lshrrev_b32_e32 v10, 2, v10
	s_or_b64 vcc, s[4:5], s[2:3]
	v_addc_co_u32_e32 v10, vcc, 0, v10, vcc
	v_cmp_gt_i32_e32 vcc, 31, v9
	v_cndmask_b32_e32 v5, v0, v5, vcc
	v_cmp_gt_i32_e32 vcc, 31, v11
	v_lshl_or_b32 v1, v1, 9, v0
	v_cndmask_b32_e32 v10, v0, v10, vcc
	v_cmp_eq_u32_e32 vcc, s18, v9
	v_lshrrev_b32_e32 v2, 16, v2
	v_lshl_or_b32 v7, v7, 9, v0
	v_cndmask_b32_e32 v1, v5, v1, vcc
	v_cmp_eq_u32_e32 vcc, s18, v11
	v_lshrrev_b32_e32 v8, 16, v8
	v_cndmask_b32_e32 v5, v10, v7, vcc
	v_and_or_b32 v1, v2, s17, v1
	v_and_or_b32 v2, v8, s17, v5
	v_and_b32_e32 v1, 0xffff, v1
	v_lshl_or_b32 v1, v2, 16, v1
	global_store_dword v[3:4], v1, off
	global_load_dword v5, v43, s[6:7] offset:2860
	v_add_u32_e32 v1, 0xa00, v6
	ds_read2_b32 v[1:2], v1 offset0:75 offset1:140
	v_add_co_u32_e32 v3, vcc, s8, v3
	s_waitcnt lgkmcnt(0)
	v_lshrrev_b32_e32 v7, 16, v1
	s_waitcnt vmcnt(0)
	v_mul_f16_sdwa v8, v7, v5 dst_sel:DWORD dst_unused:UNUSED_PAD src0_sel:DWORD src1_sel:WORD_1
	v_fma_f16 v8, v1, v5, v8
	v_mul_f16_sdwa v1, v1, v5 dst_sel:DWORD dst_unused:UNUSED_PAD src0_sel:DWORD src1_sel:WORD_1
	v_cvt_f32_f16_e32 v8, v8
	v_fma_f16 v1, v5, v7, -v1
	v_cvt_f32_f16_e32 v1, v1
	v_cvt_f64_f32_e32 v[7:8], v8
	v_cvt_f64_f32_e32 v[9:10], v1
	v_mov_b32_e32 v1, s9
	v_mul_f64 v[7:8], v[7:8], s[14:15]
	v_addc_co_u32_e32 v4, vcc, v4, v1, vcc
	v_mul_f64 v[9:10], v[9:10], s[14:15]
	v_and_or_b32 v1, v8, s16, v7
	v_cmp_ne_u32_e32 vcc, 0, v1
	v_lshrrev_b32_e32 v5, 8, v8
	v_and_or_b32 v9, v10, s16, v9
	v_bfe_u32 v7, v8, 20, 11
	v_cndmask_b32_e64 v1, 0, 1, vcc
	v_cmp_ne_u32_e32 vcc, 0, v9
	v_lshrrev_b32_e32 v11, 8, v10
	v_bfe_u32 v12, v10, 20, 11
	v_sub_u32_e32 v13, 0x3f1, v7
	v_cndmask_b32_e64 v9, 0, 1, vcc
	v_and_or_b32 v1, v5, s10, v1
	v_sub_u32_e32 v14, 0x3f1, v12
	v_med3_i32 v5, v13, 0, 13
	v_and_or_b32 v9, v11, s10, v9
	v_or_b32_e32 v13, 0x1000, v1
	v_add_u32_e32 v7, 0xfffffc10, v7
	v_med3_i32 v11, v14, 0, 13
	v_cmp_ne_u32_e32 vcc, 0, v1
	v_or_b32_e32 v15, 0x1000, v9
	v_lshrrev_b32_e32 v17, v5, v13
	v_add_u32_e32 v12, 0xfffffc10, v12
	v_lshl_or_b32 v14, v7, 12, v1
	v_cndmask_b32_e64 v1, 0, 1, vcc
	v_cmp_ne_u32_e32 vcc, 0, v9
	v_lshrrev_b32_e32 v18, v11, v15
	v_lshlrev_b32_e32 v5, v5, v17
	v_lshl_or_b32 v16, v12, 12, v9
	v_cndmask_b32_e64 v9, 0, 1, vcc
	v_lshlrev_b32_e32 v11, v11, v18
	v_cmp_ne_u32_e32 vcc, v5, v13
	v_cndmask_b32_e64 v5, 0, 1, vcc
	v_cmp_ne_u32_e32 vcc, v11, v15
	v_cndmask_b32_e64 v11, 0, 1, vcc
	v_or_b32_e32 v5, v17, v5
	v_cmp_gt_i32_e32 vcc, 1, v7
	v_cndmask_b32_e32 v5, v14, v5, vcc
	v_or_b32_e32 v11, v18, v11
	v_cmp_gt_i32_e32 vcc, 1, v12
	v_and_b32_e32 v13, 7, v5
	v_cndmask_b32_e32 v11, v16, v11, vcc
	v_cmp_lt_i32_e32 vcc, 5, v13
	v_cmp_eq_u32_e64 s[0:1], 3, v13
	v_lshrrev_b32_e32 v5, 2, v5
	v_and_b32_e32 v14, 7, v11
	s_or_b64 vcc, s[0:1], vcc
	v_cmp_lt_i32_e64 s[2:3], 5, v14
	v_cmp_eq_u32_e64 s[4:5], 3, v14
	v_addc_co_u32_e32 v5, vcc, 0, v5, vcc
	v_lshrrev_b32_e32 v11, 2, v11
	s_or_b64 vcc, s[4:5], s[2:3]
	v_addc_co_u32_e32 v11, vcc, 0, v11, vcc
	v_cmp_gt_i32_e32 vcc, 31, v7
	v_cndmask_b32_e32 v5, v0, v5, vcc
	v_cmp_gt_i32_e32 vcc, 31, v12
	v_lshl_or_b32 v1, v1, 9, v0
	v_cndmask_b32_e32 v11, v0, v11, vcc
	v_cmp_eq_u32_e32 vcc, s18, v7
	v_lshrrev_b32_e32 v8, 16, v8
	v_lshl_or_b32 v9, v9, 9, v0
	v_cndmask_b32_e32 v1, v5, v1, vcc
	v_cmp_eq_u32_e32 vcc, s18, v12
	v_lshrrev_b32_e32 v10, 16, v10
	v_cndmask_b32_e32 v5, v11, v9, vcc
	v_and_or_b32 v1, v8, s17, v1
	v_and_or_b32 v5, v10, s17, v5
	v_and_b32_e32 v1, 0xffff, v1
	v_lshl_or_b32 v1, v5, 16, v1
	global_store_dword v[3:4], v1, off
	global_load_dword v1, v43, s[6:7] offset:3120
	v_lshrrev_b32_e32 v5, 16, v2
	v_add_co_u32_e32 v3, vcc, s8, v3
	s_waitcnt vmcnt(0)
	v_mul_f16_sdwa v7, v5, v1 dst_sel:DWORD dst_unused:UNUSED_PAD src0_sel:DWORD src1_sel:WORD_1
	v_fma_f16 v7, v2, v1, v7
	v_mul_f16_sdwa v2, v2, v1 dst_sel:DWORD dst_unused:UNUSED_PAD src0_sel:DWORD src1_sel:WORD_1
	v_cvt_f32_f16_e32 v7, v7
	v_fma_f16 v1, v1, v5, -v2
	v_cvt_f32_f16_e32 v5, v1
	v_cvt_f64_f32_e32 v[1:2], v7
	v_cvt_f64_f32_e32 v[7:8], v5
	v_mov_b32_e32 v5, s9
	v_mul_f64 v[1:2], v[1:2], s[14:15]
	v_addc_co_u32_e32 v4, vcc, v4, v5, vcc
	v_mul_f64 v[7:8], v[7:8], s[14:15]
	v_and_or_b32 v1, v2, s16, v1
	v_cmp_ne_u32_e32 vcc, 0, v1
	v_lshrrev_b32_e32 v5, 8, v2
	v_and_or_b32 v7, v8, s16, v7
	v_bfe_u32 v9, v2, 20, 11
	v_cndmask_b32_e64 v1, 0, 1, vcc
	v_cmp_ne_u32_e32 vcc, 0, v7
	v_lshrrev_b32_e32 v10, 8, v8
	v_bfe_u32 v11, v8, 20, 11
	v_sub_u32_e32 v12, 0x3f1, v9
	v_cndmask_b32_e64 v7, 0, 1, vcc
	v_and_or_b32 v1, v5, s10, v1
	v_sub_u32_e32 v13, 0x3f1, v11
	v_med3_i32 v5, v12, 0, 13
	v_and_or_b32 v7, v10, s10, v7
	v_or_b32_e32 v12, 0x1000, v1
	v_add_u32_e32 v9, 0xfffffc10, v9
	v_med3_i32 v10, v13, 0, 13
	v_cmp_ne_u32_e32 vcc, 0, v1
	v_or_b32_e32 v14, 0x1000, v7
	v_lshrrev_b32_e32 v16, v5, v12
	v_add_u32_e32 v11, 0xfffffc10, v11
	v_lshl_or_b32 v13, v9, 12, v1
	v_cndmask_b32_e64 v1, 0, 1, vcc
	v_cmp_ne_u32_e32 vcc, 0, v7
	v_lshrrev_b32_e32 v17, v10, v14
	v_lshlrev_b32_e32 v5, v5, v16
	v_lshl_or_b32 v15, v11, 12, v7
	v_cndmask_b32_e64 v7, 0, 1, vcc
	v_lshlrev_b32_e32 v10, v10, v17
	v_cmp_ne_u32_e32 vcc, v5, v12
	v_cndmask_b32_e64 v5, 0, 1, vcc
	v_cmp_ne_u32_e32 vcc, v10, v14
	v_cndmask_b32_e64 v10, 0, 1, vcc
	v_or_b32_e32 v5, v16, v5
	v_cmp_gt_i32_e32 vcc, 1, v9
	v_cndmask_b32_e32 v5, v13, v5, vcc
	v_or_b32_e32 v10, v17, v10
	v_cmp_gt_i32_e32 vcc, 1, v11
	v_and_b32_e32 v12, 7, v5
	v_cndmask_b32_e32 v10, v15, v10, vcc
	v_cmp_lt_i32_e32 vcc, 5, v12
	v_cmp_eq_u32_e64 s[0:1], 3, v12
	v_lshrrev_b32_e32 v5, 2, v5
	v_and_b32_e32 v13, 7, v10
	s_or_b64 vcc, s[0:1], vcc
	v_cmp_lt_i32_e64 s[2:3], 5, v13
	v_cmp_eq_u32_e64 s[4:5], 3, v13
	v_addc_co_u32_e32 v5, vcc, 0, v5, vcc
	v_lshrrev_b32_e32 v10, 2, v10
	s_or_b64 vcc, s[4:5], s[2:3]
	v_addc_co_u32_e32 v10, vcc, 0, v10, vcc
	v_cmp_gt_i32_e32 vcc, 31, v9
	v_cndmask_b32_e32 v5, v0, v5, vcc
	v_cmp_gt_i32_e32 vcc, 31, v11
	v_lshl_or_b32 v1, v1, 9, v0
	v_cndmask_b32_e32 v10, v0, v10, vcc
	v_cmp_eq_u32_e32 vcc, s18, v9
	v_lshrrev_b32_e32 v2, 16, v2
	v_lshl_or_b32 v7, v7, 9, v0
	v_cndmask_b32_e32 v1, v5, v1, vcc
	v_cmp_eq_u32_e32 vcc, s18, v11
	v_lshrrev_b32_e32 v8, 16, v8
	v_cndmask_b32_e32 v5, v10, v7, vcc
	v_and_or_b32 v1, v2, s17, v1
	v_and_or_b32 v2, v8, s17, v5
	v_and_b32_e32 v1, 0xffff, v1
	v_lshl_or_b32 v1, v2, 16, v1
	global_store_dword v[3:4], v1, off
	global_load_dword v5, v43, s[6:7] offset:3380
	v_add_u32_e32 v1, 0xc00, v6
	ds_read2_b32 v[1:2], v1 offset0:77 offset1:142
	v_add_co_u32_e32 v3, vcc, s8, v3
	s_waitcnt lgkmcnt(0)
	v_lshrrev_b32_e32 v7, 16, v1
	s_waitcnt vmcnt(0)
	v_mul_f16_sdwa v8, v7, v5 dst_sel:DWORD dst_unused:UNUSED_PAD src0_sel:DWORD src1_sel:WORD_1
	v_fma_f16 v8, v1, v5, v8
	v_mul_f16_sdwa v1, v1, v5 dst_sel:DWORD dst_unused:UNUSED_PAD src0_sel:DWORD src1_sel:WORD_1
	v_cvt_f32_f16_e32 v8, v8
	v_fma_f16 v1, v5, v7, -v1
	v_cvt_f32_f16_e32 v1, v1
	v_cvt_f64_f32_e32 v[7:8], v8
	v_cvt_f64_f32_e32 v[9:10], v1
	v_mov_b32_e32 v1, s9
	v_mul_f64 v[7:8], v[7:8], s[14:15]
	v_addc_co_u32_e32 v4, vcc, v4, v1, vcc
	v_mul_f64 v[9:10], v[9:10], s[14:15]
	v_and_or_b32 v1, v8, s16, v7
	v_cmp_ne_u32_e32 vcc, 0, v1
	v_lshrrev_b32_e32 v5, 8, v8
	v_and_or_b32 v9, v10, s16, v9
	v_bfe_u32 v7, v8, 20, 11
	v_cndmask_b32_e64 v1, 0, 1, vcc
	v_cmp_ne_u32_e32 vcc, 0, v9
	v_lshrrev_b32_e32 v11, 8, v10
	v_bfe_u32 v12, v10, 20, 11
	v_sub_u32_e32 v13, 0x3f1, v7
	v_cndmask_b32_e64 v9, 0, 1, vcc
	v_and_or_b32 v1, v5, s10, v1
	v_sub_u32_e32 v14, 0x3f1, v12
	v_med3_i32 v5, v13, 0, 13
	v_and_or_b32 v9, v11, s10, v9
	v_or_b32_e32 v13, 0x1000, v1
	v_add_u32_e32 v7, 0xfffffc10, v7
	v_med3_i32 v11, v14, 0, 13
	v_cmp_ne_u32_e32 vcc, 0, v1
	v_or_b32_e32 v15, 0x1000, v9
	v_lshrrev_b32_e32 v17, v5, v13
	v_add_u32_e32 v12, 0xfffffc10, v12
	v_lshl_or_b32 v14, v7, 12, v1
	v_cndmask_b32_e64 v1, 0, 1, vcc
	v_cmp_ne_u32_e32 vcc, 0, v9
	v_lshrrev_b32_e32 v18, v11, v15
	v_lshlrev_b32_e32 v5, v5, v17
	v_lshl_or_b32 v16, v12, 12, v9
	v_cndmask_b32_e64 v9, 0, 1, vcc
	v_lshlrev_b32_e32 v11, v11, v18
	v_cmp_ne_u32_e32 vcc, v5, v13
	v_cndmask_b32_e64 v5, 0, 1, vcc
	v_cmp_ne_u32_e32 vcc, v11, v15
	v_cndmask_b32_e64 v11, 0, 1, vcc
	v_or_b32_e32 v5, v17, v5
	v_cmp_gt_i32_e32 vcc, 1, v7
	v_cndmask_b32_e32 v5, v14, v5, vcc
	v_or_b32_e32 v11, v18, v11
	v_cmp_gt_i32_e32 vcc, 1, v12
	v_and_b32_e32 v13, 7, v5
	v_cndmask_b32_e32 v11, v16, v11, vcc
	v_cmp_lt_i32_e32 vcc, 5, v13
	v_cmp_eq_u32_e64 s[0:1], 3, v13
	v_lshrrev_b32_e32 v5, 2, v5
	v_and_b32_e32 v14, 7, v11
	s_or_b64 vcc, s[0:1], vcc
	v_cmp_lt_i32_e64 s[2:3], 5, v14
	v_cmp_eq_u32_e64 s[4:5], 3, v14
	v_addc_co_u32_e32 v5, vcc, 0, v5, vcc
	v_lshrrev_b32_e32 v11, 2, v11
	s_or_b64 vcc, s[4:5], s[2:3]
	v_addc_co_u32_e32 v11, vcc, 0, v11, vcc
	v_cmp_gt_i32_e32 vcc, 31, v7
	v_cndmask_b32_e32 v5, v0, v5, vcc
	v_cmp_gt_i32_e32 vcc, 31, v12
	v_lshl_or_b32 v1, v1, 9, v0
	v_cndmask_b32_e32 v11, v0, v11, vcc
	v_cmp_eq_u32_e32 vcc, s18, v7
	v_lshrrev_b32_e32 v8, 16, v8
	v_lshl_or_b32 v9, v9, 9, v0
	v_cndmask_b32_e32 v1, v5, v1, vcc
	v_cmp_eq_u32_e32 vcc, s18, v12
	v_lshrrev_b32_e32 v10, 16, v10
	v_cndmask_b32_e32 v5, v11, v9, vcc
	v_and_or_b32 v1, v8, s17, v1
	v_and_or_b32 v5, v10, s17, v5
	v_and_b32_e32 v1, 0xffff, v1
	v_lshl_or_b32 v1, v5, 16, v1
	global_store_dword v[3:4], v1, off
	global_load_dword v1, v43, s[6:7] offset:3640
	v_lshrrev_b32_e32 v5, 16, v2
	v_add_co_u32_e32 v3, vcc, s8, v3
	s_waitcnt vmcnt(0)
	v_mul_f16_sdwa v7, v5, v1 dst_sel:DWORD dst_unused:UNUSED_PAD src0_sel:DWORD src1_sel:WORD_1
	v_fma_f16 v7, v2, v1, v7
	v_mul_f16_sdwa v2, v2, v1 dst_sel:DWORD dst_unused:UNUSED_PAD src0_sel:DWORD src1_sel:WORD_1
	v_cvt_f32_f16_e32 v7, v7
	v_fma_f16 v1, v1, v5, -v2
	v_cvt_f32_f16_e32 v5, v1
	v_cvt_f64_f32_e32 v[1:2], v7
	v_cvt_f64_f32_e32 v[7:8], v5
	v_mov_b32_e32 v5, s9
	v_mul_f64 v[1:2], v[1:2], s[14:15]
	v_addc_co_u32_e32 v4, vcc, v4, v5, vcc
	v_mul_f64 v[7:8], v[7:8], s[14:15]
	v_and_or_b32 v1, v2, s16, v1
	v_cmp_ne_u32_e32 vcc, 0, v1
	v_lshrrev_b32_e32 v5, 8, v2
	v_and_or_b32 v7, v8, s16, v7
	v_bfe_u32 v9, v2, 20, 11
	v_cndmask_b32_e64 v1, 0, 1, vcc
	v_cmp_ne_u32_e32 vcc, 0, v7
	v_lshrrev_b32_e32 v10, 8, v8
	v_bfe_u32 v11, v8, 20, 11
	v_sub_u32_e32 v12, 0x3f1, v9
	v_cndmask_b32_e64 v7, 0, 1, vcc
	v_and_or_b32 v1, v5, s10, v1
	v_sub_u32_e32 v13, 0x3f1, v11
	v_med3_i32 v5, v12, 0, 13
	v_and_or_b32 v7, v10, s10, v7
	v_or_b32_e32 v12, 0x1000, v1
	v_add_u32_e32 v9, 0xfffffc10, v9
	v_med3_i32 v10, v13, 0, 13
	v_cmp_ne_u32_e32 vcc, 0, v1
	v_or_b32_e32 v14, 0x1000, v7
	v_lshrrev_b32_e32 v16, v5, v12
	v_add_u32_e32 v11, 0xfffffc10, v11
	v_lshl_or_b32 v13, v9, 12, v1
	v_cndmask_b32_e64 v1, 0, 1, vcc
	v_cmp_ne_u32_e32 vcc, 0, v7
	v_lshrrev_b32_e32 v17, v10, v14
	v_lshlrev_b32_e32 v5, v5, v16
	v_lshl_or_b32 v15, v11, 12, v7
	v_cndmask_b32_e64 v7, 0, 1, vcc
	v_lshlrev_b32_e32 v10, v10, v17
	v_cmp_ne_u32_e32 vcc, v5, v12
	v_cndmask_b32_e64 v5, 0, 1, vcc
	v_cmp_ne_u32_e32 vcc, v10, v14
	v_cndmask_b32_e64 v10, 0, 1, vcc
	v_or_b32_e32 v5, v16, v5
	v_cmp_gt_i32_e32 vcc, 1, v9
	v_cndmask_b32_e32 v5, v13, v5, vcc
	v_or_b32_e32 v10, v17, v10
	v_cmp_gt_i32_e32 vcc, 1, v11
	v_and_b32_e32 v12, 7, v5
	v_cndmask_b32_e32 v10, v15, v10, vcc
	v_cmp_lt_i32_e32 vcc, 5, v12
	v_cmp_eq_u32_e64 s[0:1], 3, v12
	v_lshrrev_b32_e32 v5, 2, v5
	v_and_b32_e32 v13, 7, v10
	s_or_b64 vcc, s[0:1], vcc
	v_cmp_lt_i32_e64 s[2:3], 5, v13
	v_cmp_eq_u32_e64 s[4:5], 3, v13
	v_addc_co_u32_e32 v5, vcc, 0, v5, vcc
	v_lshrrev_b32_e32 v10, 2, v10
	s_or_b64 vcc, s[4:5], s[2:3]
	v_addc_co_u32_e32 v10, vcc, 0, v10, vcc
	v_cmp_gt_i32_e32 vcc, 31, v9
	v_cndmask_b32_e32 v5, v0, v5, vcc
	v_cmp_gt_i32_e32 vcc, 31, v11
	v_lshl_or_b32 v1, v1, 9, v0
	v_cndmask_b32_e32 v10, v0, v10, vcc
	v_cmp_eq_u32_e32 vcc, s18, v9
	v_lshrrev_b32_e32 v2, 16, v2
	v_lshl_or_b32 v7, v7, 9, v0
	v_cndmask_b32_e32 v1, v5, v1, vcc
	v_cmp_eq_u32_e32 vcc, s18, v11
	v_lshrrev_b32_e32 v8, 16, v8
	v_cndmask_b32_e32 v5, v10, v7, vcc
	v_and_or_b32 v1, v2, s17, v1
	v_and_or_b32 v2, v8, s17, v5
	v_and_b32_e32 v1, 0xffff, v1
	v_lshl_or_b32 v1, v2, 16, v1
	global_store_dword v[3:4], v1, off
	global_load_dword v5, v43, s[6:7] offset:3900
	v_add_u32_e32 v1, 0xe00, v6
	ds_read2_b32 v[1:2], v1 offset0:79 offset1:144
	v_mov_b32_e32 v7, s7
	v_add_co_u32_e32 v9, vcc, s6, v43
	v_addc_co_u32_e32 v10, vcc, 0, v7, vcc
	s_waitcnt lgkmcnt(0)
	v_lshrrev_b32_e32 v6, 16, v1
	s_movk_i32 s0, 0x1000
	v_add_co_u32_e32 v9, vcc, s0, v9
	v_addc_co_u32_e32 v10, vcc, 0, v10, vcc
	v_mov_b32_e32 v11, s9
	v_add_co_u32_e32 v3, vcc, s8, v3
	v_addc_co_u32_e32 v4, vcc, v4, v11, vcc
	s_waitcnt vmcnt(0)
	v_mul_f16_sdwa v8, v6, v5 dst_sel:DWORD dst_unused:UNUSED_PAD src0_sel:DWORD src1_sel:WORD_1
	v_fma_f16 v8, v1, v5, v8
	v_mul_f16_sdwa v1, v1, v5 dst_sel:DWORD dst_unused:UNUSED_PAD src0_sel:DWORD src1_sel:WORD_1
	v_cvt_f32_f16_e32 v8, v8
	v_fma_f16 v1, v5, v6, -v1
	v_cvt_f32_f16_e32 v1, v1
	v_cvt_f64_f32_e32 v[5:6], v8
	v_cvt_f64_f32_e32 v[7:8], v1
	v_mul_f64 v[5:6], v[5:6], s[14:15]
	v_mul_f64 v[7:8], v[7:8], s[14:15]
	v_and_or_b32 v1, v6, s16, v5
	v_cmp_ne_u32_e32 vcc, 0, v1
	v_and_or_b32 v7, v8, s16, v7
	v_lshrrev_b32_e32 v5, 8, v6
	v_bfe_u32 v11, v6, 20, 11
	v_cndmask_b32_e64 v1, 0, 1, vcc
	v_cmp_ne_u32_e32 vcc, 0, v7
	v_lshrrev_b32_e32 v12, 8, v8
	v_bfe_u32 v13, v8, 20, 11
	v_sub_u32_e32 v14, 0x3f1, v11
	v_cndmask_b32_e64 v7, 0, 1, vcc
	v_and_or_b32 v1, v5, s10, v1
	v_sub_u32_e32 v15, 0x3f1, v13
	v_med3_i32 v5, v14, 0, 13
	v_and_or_b32 v7, v12, s10, v7
	v_or_b32_e32 v14, 0x1000, v1
	v_add_u32_e32 v11, 0xfffffc10, v11
	v_med3_i32 v12, v15, 0, 13
	v_cmp_ne_u32_e32 vcc, 0, v1
	v_or_b32_e32 v16, 0x1000, v7
	v_lshrrev_b32_e32 v18, v5, v14
	v_add_u32_e32 v13, 0xfffffc10, v13
	v_lshl_or_b32 v15, v11, 12, v1
	v_cndmask_b32_e64 v1, 0, 1, vcc
	v_cmp_ne_u32_e32 vcc, 0, v7
	v_lshrrev_b32_e32 v19, v12, v16
	v_lshlrev_b32_e32 v5, v5, v18
	v_lshl_or_b32 v17, v13, 12, v7
	v_cndmask_b32_e64 v7, 0, 1, vcc
	v_lshlrev_b32_e32 v12, v12, v19
	v_cmp_ne_u32_e32 vcc, v5, v14
	v_cndmask_b32_e64 v5, 0, 1, vcc
	v_cmp_ne_u32_e32 vcc, v12, v16
	v_cndmask_b32_e64 v12, 0, 1, vcc
	v_or_b32_e32 v5, v18, v5
	v_cmp_gt_i32_e32 vcc, 1, v11
	v_cndmask_b32_e32 v5, v15, v5, vcc
	v_or_b32_e32 v12, v19, v12
	v_cmp_gt_i32_e32 vcc, 1, v13
	v_and_b32_e32 v14, 7, v5
	v_cndmask_b32_e32 v12, v17, v12, vcc
	v_cmp_lt_i32_e32 vcc, 5, v14
	v_cmp_eq_u32_e64 s[0:1], 3, v14
	v_lshrrev_b32_e32 v5, 2, v5
	v_and_b32_e32 v15, 7, v12
	s_or_b64 vcc, s[0:1], vcc
	v_cmp_lt_i32_e64 s[2:3], 5, v15
	v_cmp_eq_u32_e64 s[4:5], 3, v15
	v_addc_co_u32_e32 v5, vcc, 0, v5, vcc
	v_lshrrev_b32_e32 v12, 2, v12
	s_or_b64 vcc, s[4:5], s[2:3]
	v_addc_co_u32_e32 v12, vcc, 0, v12, vcc
	v_cmp_gt_i32_e32 vcc, 31, v11
	v_cndmask_b32_e32 v5, v0, v5, vcc
	v_cmp_gt_i32_e32 vcc, 31, v13
	v_lshl_or_b32 v1, v1, 9, v0
	v_cndmask_b32_e32 v12, v0, v12, vcc
	v_cmp_eq_u32_e32 vcc, s18, v11
	v_lshrrev_b32_e32 v6, 16, v6
	v_lshl_or_b32 v7, v7, 9, v0
	v_cndmask_b32_e32 v1, v5, v1, vcc
	v_cmp_eq_u32_e32 vcc, s18, v13
	v_lshrrev_b32_e32 v8, 16, v8
	v_cndmask_b32_e32 v5, v12, v7, vcc
	v_and_or_b32 v1, v6, s17, v1
	v_and_or_b32 v5, v8, s17, v5
	v_and_b32_e32 v1, 0xffff, v1
	v_lshl_or_b32 v1, v5, 16, v1
	global_store_dword v[3:4], v1, off
	global_load_dword v1, v[9:10], off offset:64
	v_lshrrev_b32_e32 v5, 16, v2
	v_mov_b32_e32 v7, s9
	s_waitcnt vmcnt(0)
	v_mul_f16_sdwa v6, v5, v1 dst_sel:DWORD dst_unused:UNUSED_PAD src0_sel:DWORD src1_sel:WORD_1
	v_fma_f16 v6, v2, v1, v6
	v_mul_f16_sdwa v2, v2, v1 dst_sel:DWORD dst_unused:UNUSED_PAD src0_sel:DWORD src1_sel:WORD_1
	v_cvt_f32_f16_e32 v6, v6
	v_fma_f16 v1, v1, v5, -v2
	v_cvt_f32_f16_e32 v5, v1
	v_cvt_f64_f32_e32 v[1:2], v6
	v_cvt_f64_f32_e32 v[5:6], v5
	v_mul_f64 v[1:2], v[1:2], s[14:15]
	v_mul_f64 v[5:6], v[5:6], s[14:15]
	v_and_or_b32 v1, v2, s16, v1
	v_cmp_ne_u32_e32 vcc, 0, v1
	v_and_or_b32 v5, v6, s16, v5
	v_lshrrev_b32_e32 v8, 8, v2
	v_bfe_u32 v9, v2, 20, 11
	v_cndmask_b32_e64 v1, 0, 1, vcc
	v_cmp_ne_u32_e32 vcc, 0, v5
	v_lshrrev_b32_e32 v10, 8, v6
	v_bfe_u32 v11, v6, 20, 11
	v_sub_u32_e32 v12, 0x3f1, v9
	v_cndmask_b32_e64 v5, 0, 1, vcc
	v_and_or_b32 v1, v8, s10, v1
	v_sub_u32_e32 v13, 0x3f1, v11
	v_med3_i32 v8, v12, 0, 13
	v_and_or_b32 v5, v10, s10, v5
	v_or_b32_e32 v12, 0x1000, v1
	v_add_u32_e32 v9, 0xfffffc10, v9
	v_med3_i32 v10, v13, 0, 13
	v_cmp_ne_u32_e32 vcc, 0, v1
	v_or_b32_e32 v14, 0x1000, v5
	v_lshrrev_b32_e32 v16, v8, v12
	v_add_u32_e32 v11, 0xfffffc10, v11
	v_lshl_or_b32 v13, v9, 12, v1
	v_cndmask_b32_e64 v1, 0, 1, vcc
	v_cmp_ne_u32_e32 vcc, 0, v5
	v_lshrrev_b32_e32 v17, v10, v14
	v_lshlrev_b32_e32 v8, v8, v16
	v_lshl_or_b32 v15, v11, 12, v5
	v_cndmask_b32_e64 v5, 0, 1, vcc
	v_lshlrev_b32_e32 v10, v10, v17
	v_cmp_ne_u32_e32 vcc, v8, v12
	v_cndmask_b32_e64 v8, 0, 1, vcc
	v_cmp_ne_u32_e32 vcc, v10, v14
	v_cndmask_b32_e64 v10, 0, 1, vcc
	v_or_b32_e32 v8, v16, v8
	v_cmp_gt_i32_e32 vcc, 1, v9
	v_cndmask_b32_e32 v8, v13, v8, vcc
	v_or_b32_e32 v10, v17, v10
	v_cmp_gt_i32_e32 vcc, 1, v11
	v_and_b32_e32 v12, 7, v8
	v_cndmask_b32_e32 v10, v15, v10, vcc
	v_cmp_lt_i32_e32 vcc, 5, v12
	v_cmp_eq_u32_e64 s[0:1], 3, v12
	v_lshrrev_b32_e32 v8, 2, v8
	v_and_b32_e32 v13, 7, v10
	s_or_b64 vcc, s[0:1], vcc
	v_cmp_lt_i32_e64 s[2:3], 5, v13
	v_cmp_eq_u32_e64 s[4:5], 3, v13
	v_addc_co_u32_e32 v8, vcc, 0, v8, vcc
	v_lshrrev_b32_e32 v10, 2, v10
	s_or_b64 vcc, s[4:5], s[2:3]
	v_addc_co_u32_e32 v10, vcc, 0, v10, vcc
	v_cmp_gt_i32_e32 vcc, 31, v9
	v_cndmask_b32_e32 v8, v0, v8, vcc
	v_cmp_gt_i32_e32 vcc, 31, v11
	v_lshl_or_b32 v1, v1, 9, v0
	v_lshl_or_b32 v5, v5, 9, v0
	v_cndmask_b32_e32 v0, v0, v10, vcc
	v_cmp_eq_u32_e32 vcc, s18, v9
	v_lshrrev_b32_e32 v2, 16, v2
	v_cndmask_b32_e32 v1, v8, v1, vcc
	v_cmp_eq_u32_e32 vcc, s18, v11
	v_lshrrev_b32_e32 v6, 16, v6
	v_cndmask_b32_e32 v0, v0, v5, vcc
	v_and_or_b32 v1, v2, s17, v1
	v_and_or_b32 v0, v6, s17, v0
	v_and_b32_e32 v1, 0xffff, v1
	v_lshl_or_b32 v2, v0, 16, v1
	v_add_co_u32_e32 v0, vcc, s8, v3
	v_addc_co_u32_e32 v1, vcc, v4, v7, vcc
	global_store_dword v[0:1], v2, off
.LBB0_23:
	s_endpgm
	.section	.rodata,"a",@progbits
	.p2align	6, 0x0
	.amdhsa_kernel bluestein_single_back_len1105_dim1_half_op_CI_CI
		.amdhsa_group_segment_fixed_size 13260
		.amdhsa_private_segment_fixed_size 0
		.amdhsa_kernarg_size 104
		.amdhsa_user_sgpr_count 6
		.amdhsa_user_sgpr_private_segment_buffer 1
		.amdhsa_user_sgpr_dispatch_ptr 0
		.amdhsa_user_sgpr_queue_ptr 0
		.amdhsa_user_sgpr_kernarg_segment_ptr 1
		.amdhsa_user_sgpr_dispatch_id 0
		.amdhsa_user_sgpr_flat_scratch_init 0
		.amdhsa_user_sgpr_private_segment_size 0
		.amdhsa_uses_dynamic_stack 0
		.amdhsa_system_sgpr_private_segment_wavefront_offset 0
		.amdhsa_system_sgpr_workgroup_id_x 1
		.amdhsa_system_sgpr_workgroup_id_y 0
		.amdhsa_system_sgpr_workgroup_id_z 0
		.amdhsa_system_sgpr_workgroup_info 0
		.amdhsa_system_vgpr_workitem_id 0
		.amdhsa_next_free_vgpr 241
		.amdhsa_next_free_sgpr 39
		.amdhsa_reserve_vcc 1
		.amdhsa_reserve_flat_scratch 0
		.amdhsa_float_round_mode_32 0
		.amdhsa_float_round_mode_16_64 0
		.amdhsa_float_denorm_mode_32 3
		.amdhsa_float_denorm_mode_16_64 3
		.amdhsa_dx10_clamp 1
		.amdhsa_ieee_mode 1
		.amdhsa_fp16_overflow 0
		.amdhsa_exception_fp_ieee_invalid_op 0
		.amdhsa_exception_fp_denorm_src 0
		.amdhsa_exception_fp_ieee_div_zero 0
		.amdhsa_exception_fp_ieee_overflow 0
		.amdhsa_exception_fp_ieee_underflow 0
		.amdhsa_exception_fp_ieee_inexact 0
		.amdhsa_exception_int_div_zero 0
	.end_amdhsa_kernel
	.text
.Lfunc_end0:
	.size	bluestein_single_back_len1105_dim1_half_op_CI_CI, .Lfunc_end0-bluestein_single_back_len1105_dim1_half_op_CI_CI
                                        ; -- End function
	.section	.AMDGPU.csdata,"",@progbits
; Kernel info:
; codeLenInByte = 32532
; NumSgprs: 43
; NumVgprs: 241
; ScratchSize: 0
; MemoryBound: 0
; FloatMode: 240
; IeeeMode: 1
; LDSByteSize: 13260 bytes/workgroup (compile time only)
; SGPRBlocks: 5
; VGPRBlocks: 60
; NumSGPRsForWavesPerEU: 43
; NumVGPRsForWavesPerEU: 241
; Occupancy: 1
; WaveLimiterHint : 1
; COMPUTE_PGM_RSRC2:SCRATCH_EN: 0
; COMPUTE_PGM_RSRC2:USER_SGPR: 6
; COMPUTE_PGM_RSRC2:TRAP_HANDLER: 0
; COMPUTE_PGM_RSRC2:TGID_X_EN: 1
; COMPUTE_PGM_RSRC2:TGID_Y_EN: 0
; COMPUTE_PGM_RSRC2:TGID_Z_EN: 0
; COMPUTE_PGM_RSRC2:TIDIG_COMP_CNT: 0
	.type	__hip_cuid_dd760098242e1b6d,@object ; @__hip_cuid_dd760098242e1b6d
	.section	.bss,"aw",@nobits
	.globl	__hip_cuid_dd760098242e1b6d
__hip_cuid_dd760098242e1b6d:
	.byte	0                               ; 0x0
	.size	__hip_cuid_dd760098242e1b6d, 1

	.ident	"AMD clang version 19.0.0git (https://github.com/RadeonOpenCompute/llvm-project roc-6.4.0 25133 c7fe45cf4b819c5991fe208aaa96edf142730f1d)"
	.section	".note.GNU-stack","",@progbits
	.addrsig
	.addrsig_sym __hip_cuid_dd760098242e1b6d
	.amdgpu_metadata
---
amdhsa.kernels:
  - .args:
      - .actual_access:  read_only
        .address_space:  global
        .offset:         0
        .size:           8
        .value_kind:     global_buffer
      - .actual_access:  read_only
        .address_space:  global
        .offset:         8
        .size:           8
        .value_kind:     global_buffer
      - .actual_access:  read_only
        .address_space:  global
        .offset:         16
        .size:           8
        .value_kind:     global_buffer
      - .actual_access:  read_only
        .address_space:  global
        .offset:         24
        .size:           8
        .value_kind:     global_buffer
      - .actual_access:  read_only
        .address_space:  global
        .offset:         32
        .size:           8
        .value_kind:     global_buffer
      - .offset:         40
        .size:           8
        .value_kind:     by_value
      - .address_space:  global
        .offset:         48
        .size:           8
        .value_kind:     global_buffer
      - .address_space:  global
        .offset:         56
        .size:           8
        .value_kind:     global_buffer
      - .address_space:  global
        .offset:         64
        .size:           8
        .value_kind:     global_buffer
      - .address_space:  global
        .offset:         72
        .size:           8
        .value_kind:     global_buffer
      - .offset:         80
        .size:           4
        .value_kind:     by_value
      - .address_space:  global
        .offset:         88
        .size:           8
        .value_kind:     global_buffer
      - .address_space:  global
        .offset:         96
        .size:           8
        .value_kind:     global_buffer
    .group_segment_fixed_size: 13260
    .kernarg_segment_align: 8
    .kernarg_segment_size: 104
    .language:       OpenCL C
    .language_version:
      - 2
      - 0
    .max_flat_workgroup_size: 255
    .name:           bluestein_single_back_len1105_dim1_half_op_CI_CI
    .private_segment_fixed_size: 0
    .sgpr_count:     43
    .sgpr_spill_count: 0
    .symbol:         bluestein_single_back_len1105_dim1_half_op_CI_CI.kd
    .uniform_work_group_size: 1
    .uses_dynamic_stack: false
    .vgpr_count:     241
    .vgpr_spill_count: 0
    .wavefront_size: 64
amdhsa.target:   amdgcn-amd-amdhsa--gfx906
amdhsa.version:
  - 1
  - 2
...

	.end_amdgpu_metadata
